;; amdgpu-corpus repo=ROCm/hip-tests kind=compiled arch=gfx1100 opt=O3
	.text
	.amdgcn_target "amdgcn-amd-amdhsa--gfx1100"
	.amdhsa_code_object_version 6
	.section	.text._ZL31kernel_cg_multi_grid_group_typePiS_S_S_S_S_S_,"axG",@progbits,_ZL31kernel_cg_multi_grid_group_typePiS_S_S_S_S_S_,comdat
	.globl	_ZL31kernel_cg_multi_grid_group_typePiS_S_S_S_S_S_ ; -- Begin function _ZL31kernel_cg_multi_grid_group_typePiS_S_S_S_S_S_
	.p2align	8
	.type	_ZL31kernel_cg_multi_grid_group_typePiS_S_S_S_S_S_,@function
_ZL31kernel_cg_multi_grid_group_typePiS_S_S_S_S_S_: ; @_ZL31kernel_cg_multi_grid_group_typePiS_S_S_S_S_S_
; %bb.0:
	s_clause 0x2
	s_load_b64 s[28:29], s[0:1], 0x90
	s_load_b32 s12, s[0:1], 0x44
	s_load_b256 s[4:11], s[0:1], 0x20
	s_waitcnt lgkmcnt(0)
	s_add_u32 s10, s0, 56
	s_addc_u32 s11, s1, 0
	s_load_b256 s[16:23], s[0:1], 0x0
	s_clause 0x1
	s_load_b64 s[2:3], s[28:29], 0x8
	s_load_b128 s[24:27], s[28:29], 0x10
	v_and_b32_e32 v1, 0x3ff, v0
	s_and_b32 s12, s12, 0xffff
	s_waitcnt lgkmcnt(0)
	v_mov_b32_e32 v12, s2
	s_delay_alu instid0(VALU_DEP_2) | instskip(SKIP_2) | instid1(VALU_DEP_3)
	v_mad_u64_u32 v[4:5], null, s13, s12, v[1:2]
	v_mov_b32_e32 v11, s3
	v_mov_b32_e32 v13, s26
	v_ashrrev_i32_e32 v5, 31, v4
	s_delay_alu instid0(VALU_DEP_1) | instskip(NEXT) | instid1(VALU_DEP_1)
	v_lshlrev_b64 v[2:3], 2, v[4:5]
	v_add_co_u32 v5, vcc_lo, s8, v2
	s_delay_alu instid0(VALU_DEP_2)
	v_add_co_ci_u32_e32 v6, vcc_lo, s9, v3, vcc_lo
	v_add_co_u32 v7, vcc_lo, s16, v2
	v_add_co_ci_u32_e32 v8, vcc_lo, s17, v3, vcc_lo
	v_add_co_u32 v9, vcc_lo, s18, v2
	v_add_co_ci_u32_e32 v10, vcc_lo, s19, v3, vcc_lo
	global_store_b32 v[5:6], v11, off
	global_store_b32 v[7:8], v12, off
	;; [unrolled: 1-line block ×3, first 2 shown]
	s_clause 0x1
	s_load_b32 s0, s[10:11], 0x40
	s_load_b32 s1, s[10:11], 0x0
	s_waitcnt lgkmcnt(0)
	v_cmp_lt_i16_e64 s8, s0, 2
	s_delay_alu instid0(VALU_DEP_1)
	s_and_b32 vcc_lo, exec_lo, s8
	s_cbranch_vccnz .LBB0_5
; %bb.1:
	v_cmp_lt_i16_e64 s8, s0, 3
	s_delay_alu instid0(VALU_DEP_1)
	s_and_b32 vcc_lo, exec_lo, s8
	s_cbranch_vccnz .LBB0_6
; %bb.2:
	v_cmp_eq_u16_e64 s8, s0, 3
	v_mov_b32_e32 v6, 0
	v_mov_b32_e32 v7, 0
	s_delay_alu instid0(VALU_DEP_3)
	s_and_b32 vcc_lo, exec_lo, s8
	s_cbranch_vccz .LBB0_4
; %bb.3:
	v_mov_b32_e32 v5, 0
	v_bfe_u32 v6, v0, 10, 10
	v_bfe_u32 v7, v0, 20, 10
	s_load_b32 s8, s[10:11], 0x4
	global_load_b32 v8, v5, s[10:11] offset:14
	s_waitcnt vmcnt(0)
	v_and_b32_e32 v10, 0xffff, v8
	v_lshrrev_b32_e32 v12, 16, v8
	s_delay_alu instid0(VALU_DEP_2) | instskip(SKIP_4) | instid1(VALU_DEP_3)
	v_mad_u64_u32 v[8:9], null, s14, v10, v[6:7]
	s_waitcnt lgkmcnt(0)
	v_mul_lo_u32 v13, s8, v10
	v_mov_b32_e32 v9, v5
	s_mul_i32 s8, s1, s12
	v_mad_u64_u32 v[10:11], null, s15, v12, v[7:8]
	s_delay_alu instid0(VALU_DEP_1) | instskip(NEXT) | instid1(VALU_DEP_1)
	v_mad_u64_u32 v[11:12], null, v10, v13, v[8:9]
	v_mad_u64_u32 v[6:7], null, v11, s8, v[4:5]
	s_delay_alu instid0(VALU_DEP_1) | instskip(NEXT) | instid1(VALU_DEP_1)
	v_mov_b32_e32 v5, v7
	v_mad_u64_u32 v[7:8], null, v12, s8, v[5:6]
.LBB0_4:
	s_cbranch_execz .LBB0_7
	s_branch .LBB0_8
.LBB0_5:
                                        ; implicit-def: $vgpr6_vgpr7
	s_branch .LBB0_9
.LBB0_6:
                                        ; implicit-def: $vgpr6_vgpr7
.LBB0_7:
	s_load_b64 s[8:9], s[10:11], 0xc
	v_bfe_u32 v5, v0, 10, 10
	s_waitcnt lgkmcnt(0)
	s_lshr_b32 s8, s8, 16
	s_lshr_b32 s9, s9, 16
	s_delay_alu instid0(VALU_DEP_1) | instskip(SKIP_2) | instid1(SALU_CYCLE_1)
	v_mad_u64_u32 v[8:9], null, s14, s8, v[5:6]
	v_mov_b32_e32 v5, 0
	s_mul_i32 s8, s1, s12
	s_add_i32 s8, s8, s9
	s_delay_alu instid0(VALU_DEP_1) | instid1(SALU_CYCLE_1)
	v_mad_u64_u32 v[6:7], null, v8, s8, v[4:5]
.LBB0_8:
	s_cbranch_execnz .LBB0_11
.LBB0_9:
	v_cmp_ne_u16_e64 s0, s0, 1
	v_mov_b32_e32 v6, 0
	v_mov_b32_e32 v7, 0
	s_delay_alu instid0(VALU_DEP_3)
	s_and_b32 vcc_lo, exec_lo, s0
	s_cbranch_vccnz .LBB0_11
; %bb.10:
	v_dual_mov_b32 v7, v5 :: v_dual_mov_b32 v6, v4
.LBB0_11:
	v_bfe_u32 v4, v0, 10, 10
	v_bfe_u32 v0, v0, 20, 10
	v_add_co_u32 v5, vcc_lo, s20, v2
	s_cmp_lg_u64 s[28:29], 0
	s_delay_alu instid0(VALU_DEP_4)
	v_dual_mov_b32 v12, 1 :: v_dual_add_nc_u32 v9, s24, v6
	v_add_co_ci_u32_e32 v6, vcc_lo, s21, v3, vcc_lo
	s_cselect_b32 s0, -1, 0
	s_cmp_lg_u32 s3, 0
	v_add_co_u32 v7, vcc_lo, s22, v2
	v_or3_b32 v11, v1, v4, v0
	s_cselect_b32 s8, -1, 0
	v_add_co_ci_u32_e32 v8, vcc_lo, s23, v3, vcc_lo
	v_add_co_u32 v2, vcc_lo, s4, v2
	s_and_b32 s0, s0, s8
	v_add_co_ci_u32_e32 v3, vcc_lo, s5, v3, vcc_lo
	v_cndmask_b32_e64 v10, 0, 1, s0
	v_cmp_eq_u32_e32 vcc_lo, 0, v11
	global_store_b32 v[5:6], v9, off
	global_store_b32 v[7:8], v10, off
	;; [unrolled: 1-line block ×3, first 2 shown]
	s_waitcnt_vscnt null, 0x0
	buffer_gl1_inv
	buffer_gl0_inv
	s_barrier
	s_and_saveexec_b32 s8, vcc_lo
	s_cbranch_execz .LBB0_21
; %bb.12:
	v_mov_b32_e32 v5, 0
	s_mov_b32 s9, exec_lo
	s_mov_b32 s10, exec_lo
	v_mbcnt_lo_u32_b32 v3, s9, 0
                                        ; implicit-def: $vgpr6
	global_load_b32 v2, v5, s[28:29] offset:40
	v_cmpx_eq_u32_e32 0, v3
	s_cbranch_execz .LBB0_14
; %bb.13:
	s_bcnt1_i32_b32 s0, s9
	s_delay_alu instid0(SALU_CYCLE_1)
	v_mov_b32_e32 v6, s0
	global_atomic_add_u32 v6, v5, v6, s[28:29] offset:32 glc
.LBB0_14:
	s_or_b32 exec_lo, exec_lo, s10
	s_waitcnt vmcnt(0)
	v_readfirstlane_b32 s0, v6
	v_add_nc_u32_e32 v6, -1, v2
	s_mov_b32 s9, exec_lo
	s_delay_alu instid0(VALU_DEP_2) | instskip(NEXT) | instid1(VALU_DEP_1)
	v_add_nc_u32_e32 v3, s0, v3
	v_and_b32_e32 v5, 0xffff, v3
	s_delay_alu instid0(VALU_DEP_1)
	v_cmpx_ne_u32_e64 v5, v6
	s_xor_b32 s9, exec_lo, s9
	s_cbranch_execz .LBB0_18
; %bb.15:
	v_mov_b32_e32 v2, 0
	s_mov_b32 s10, 0
.LBB0_16:                               ; =>This Inner Loop Header: Depth=1
	s_sleep 1
	global_load_b32 v5, v2, s[28:29] offset:32 glc
	s_waitcnt vmcnt(0)
	v_xor_b32_e32 v5, v5, v3
	s_delay_alu instid0(VALU_DEP_1) | instskip(NEXT) | instid1(VALU_DEP_1)
	v_cmp_lt_u32_e64 s0, 0xffff, v5
	s_or_b32 s10, s0, s10
	s_delay_alu instid0(SALU_CYCLE_1)
	s_and_not1_b32 exec_lo, exec_lo, s10
	s_cbranch_execnz .LBB0_16
; %bb.17:
	s_or_b32 exec_lo, exec_lo, s10
                                        ; implicit-def: $vgpr2
.LBB0_18:
	s_and_not1_saveexec_b32 s0, s9
	s_cbranch_execz .LBB0_21
; %bb.19:
	s_mov_b32 s9, exec_lo
	s_delay_alu instid0(SALU_CYCLE_1) | instskip(NEXT) | instid1(VALU_DEP_1)
	v_mbcnt_lo_u32_b32 v3, s9, 0
	v_cmp_eq_u32_e64 s0, 0, v3
	s_delay_alu instid0(VALU_DEP_1) | instskip(NEXT) | instid1(SALU_CYCLE_1)
	s_and_b32 s0, exec_lo, s0
	s_mov_b32 exec_lo, s0
	s_cbranch_execz .LBB0_21
; %bb.20:
	v_sub_nc_u32_e32 v2, 0x10000, v2
	s_bcnt1_i32_b32 s0, s9
	v_mov_b32_e32 v3, 0
	s_delay_alu instid0(VALU_DEP_2)
	v_mul_lo_u32 v2, v2, s0
	global_atomic_add_u32 v3, v2, s[28:29] offset:32
.LBB0_21:
	s_or_b32 exec_lo, exec_lo, s8
	v_or_b32_e32 v2, s13, v1
	s_mov_b32 s8, exec_lo
	s_waitcnt_vscnt null, 0x0
	s_barrier
	s_delay_alu instid0(VALU_DEP_1)
	v_cmpx_eq_u32_e32 0, v2
	s_cbranch_execz .LBB0_27
; %bb.22:
	v_mov_b32_e32 v5, 0
	s_mul_i32 s0, s1, s12
	s_delay_alu instid0(SALU_CYCLE_1)
	s_cmp_lt_u32 s0, 2
	global_load_b32 v3, v5, s[4:5]
	s_cbranch_scc1 .LBB0_26
; %bb.23:
	s_add_i32 s9, s0, -1
	s_add_u32 s0, s4, 4
	s_addc_u32 s1, s5, 0
.LBB0_24:                               ; =>This Inner Loop Header: Depth=1
	global_load_b32 v6, v5, s[0:1]
	s_add_i32 s9, s9, -1
	s_add_u32 s0, s0, 4
	s_addc_u32 s1, s1, 0
	s_cmp_eq_u32 s9, 0
	s_waitcnt vmcnt(0)
	v_add_nc_u32_e32 v3, v3, v6
	s_cbranch_scc0 .LBB0_24
; %bb.25:
	v_mov_b32_e32 v5, 0
	global_store_b32 v5, v3, s[4:5]
.LBB0_26:
	s_add_i32 s0, s2, 1
	s_mov_b32 s1, 0
	v_mov_b32_e32 v5, 0
	s_lshl_b64 s[0:1], s[0:1], 2
	s_delay_alu instid0(SALU_CYCLE_1)
	s_add_u32 s0, s6, s0
	s_addc_u32 s1, s7, s1
	s_waitcnt vmcnt(0)
	global_store_b32 v5, v3, s[0:1]
.LBB0_27:
	s_or_b32 exec_lo, exec_lo, s8
	v_mov_b32_e32 v3, 0
	s_waitcnt_vscnt null, 0x0
	buffer_gl1_inv
	buffer_gl0_inv
	s_barrier
	global_load_b32 v3, v3, s[28:29] offset:40
	s_waitcnt vmcnt(0)
	v_readfirstlane_b32 s1, v3
	s_and_saveexec_b32 s4, vcc_lo
	s_cbranch_execz .LBB0_37
; %bb.28:
	s_mov_b32 s8, exec_lo
	s_mov_b32 s5, exec_lo
	v_mbcnt_lo_u32_b32 v3, s8, 0
                                        ; implicit-def: $vgpr5
	s_delay_alu instid0(VALU_DEP_1)
	v_cmpx_eq_u32_e32 0, v3
	s_cbranch_execz .LBB0_30
; %bb.29:
	s_bcnt1_i32_b32 s0, s8
	s_delay_alu instid0(SALU_CYCLE_1)
	v_dual_mov_b32 v5, 0 :: v_dual_mov_b32 v6, s0
	global_atomic_add_u32 v5, v5, v6, s[28:29] offset:32 glc
.LBB0_30:
	s_or_b32 exec_lo, exec_lo, s5
	s_waitcnt vmcnt(0)
	v_readfirstlane_b32 s0, v5
	s_mov_b32 s5, exec_lo
	s_delay_alu instid0(VALU_DEP_1) | instskip(SKIP_1) | instid1(VALU_DEP_1)
	v_add_nc_u32_e32 v3, s0, v3
	s_add_i32 s0, s1, -1
	v_and_b32_e32 v5, 0xffff, v3
	s_delay_alu instid0(VALU_DEP_1)
	v_cmpx_ne_u32_e64 s0, v5
	s_xor_b32 s5, exec_lo, s5
	s_cbranch_execz .LBB0_34
; %bb.31:
	v_mov_b32_e32 v5, 0
	s_mov_b32 s8, 0
.LBB0_32:                               ; =>This Inner Loop Header: Depth=1
	s_sleep 1
	global_load_b32 v6, v5, s[28:29] offset:32 glc
	s_waitcnt vmcnt(0)
	v_xor_b32_e32 v6, v6, v3
	s_delay_alu instid0(VALU_DEP_1) | instskip(NEXT) | instid1(VALU_DEP_1)
	v_cmp_lt_u32_e64 s0, 0xffff, v6
	s_or_b32 s8, s0, s8
	s_delay_alu instid0(SALU_CYCLE_1)
	s_and_not1_b32 exec_lo, exec_lo, s8
	s_cbranch_execnz .LBB0_32
; %bb.33:
	s_or_b32 exec_lo, exec_lo, s8
.LBB0_34:
	s_and_not1_saveexec_b32 s0, s5
	s_cbranch_execz .LBB0_37
; %bb.35:
	s_mov_b32 s5, exec_lo
	s_delay_alu instid0(SALU_CYCLE_1) | instskip(NEXT) | instid1(VALU_DEP_1)
	v_mbcnt_lo_u32_b32 v3, s5, 0
	v_cmp_eq_u32_e64 s0, 0, v3
	s_delay_alu instid0(VALU_DEP_1) | instskip(NEXT) | instid1(SALU_CYCLE_1)
	s_and_b32 s0, exec_lo, s0
	s_mov_b32 exec_lo, s0
	s_cbranch_execz .LBB0_37
; %bb.36:
	s_sub_i32 s0, 0x10000, s1
	s_bcnt1_i32_b32 s5, s5
	v_mov_b32_e32 v3, 0
	s_mul_i32 s0, s0, s5
	s_delay_alu instid0(SALU_CYCLE_1)
	v_mov_b32_e32 v5, s0
	global_atomic_add_u32 v3, v5, s[28:29] offset:32
.LBB0_37:
	s_or_b32 exec_lo, exec_lo, s4
	s_or_b32 s0, s14, s15
	s_mov_b32 s4, exec_lo
	v_or3_b32 v1, s0, s13, v1
	s_delay_alu instid0(VALU_DEP_1) | instskip(NEXT) | instid1(VALU_DEP_1)
	v_or3_b32 v0, v1, v4, v0
	v_cmpx_eq_u32_e32 0, v0
	s_cbranch_execz .LBB0_47
; %bb.38:
	v_mov_b32_e32 v3, 0
	s_mov_b32 s5, exec_lo
	s_mov_b32 s8, exec_lo
	v_mbcnt_lo_u32_b32 v4, s5, 0
                                        ; implicit-def: $vgpr5
	s_clause 0x1
	global_load_b64 v[0:1], v3, s[28:29]
	global_load_b32 v3, v3, s[28:29] offset:12
	v_cmpx_eq_u32_e32 0, v4
	s_cbranch_execz .LBB0_40
; %bb.39:
	s_bcnt1_i32_b32 s0, s5
	s_delay_alu instid0(SALU_CYCLE_1)
	v_mov_b32_e32 v5, s0
	s_waitcnt vmcnt(1)
	global_atomic_add_u32 v5, v[0:1], v5, off glc
.LBB0_40:
	s_or_b32 exec_lo, exec_lo, s8
	s_waitcnt vmcnt(0)
	v_readfirstlane_b32 s0, v5
	v_add_nc_u32_e32 v6, -1, v3
	s_mov_b32 s5, exec_lo
	s_delay_alu instid0(VALU_DEP_2) | instskip(NEXT) | instid1(VALU_DEP_1)
	v_add_nc_u32_e32 v4, s0, v4
	v_and_b32_e32 v5, 0xff, v4
	s_delay_alu instid0(VALU_DEP_1)
	v_cmpx_ne_u32_e64 v5, v6
	s_xor_b32 s5, exec_lo, s5
	s_cbranch_execz .LBB0_44
; %bb.41:
	s_mov_b32 s8, 0
.LBB0_42:                               ; =>This Inner Loop Header: Depth=1
	s_sleep 2
	global_load_b32 v3, v[0:1], off glc
	s_waitcnt vmcnt(0)
	v_xor_b32_e32 v3, v3, v4
	s_delay_alu instid0(VALU_DEP_1) | instskip(NEXT) | instid1(VALU_DEP_1)
	v_cmp_lt_u32_e64 s0, 0xff, v3
	s_or_b32 s8, s0, s8
	s_delay_alu instid0(SALU_CYCLE_1)
	s_and_not1_b32 exec_lo, exec_lo, s8
	s_cbranch_execnz .LBB0_42
; %bb.43:
	s_or_b32 exec_lo, exec_lo, s8
                                        ; implicit-def: $vgpr3
                                        ; implicit-def: $vgpr0_vgpr1
.LBB0_44:
	s_and_not1_saveexec_b32 s0, s5
	s_cbranch_execz .LBB0_47
; %bb.45:
	s_mov_b32 s5, exec_lo
	s_delay_alu instid0(SALU_CYCLE_1) | instskip(NEXT) | instid1(VALU_DEP_1)
	v_mbcnt_lo_u32_b32 v4, s5, 0
	v_cmp_eq_u32_e64 s0, 0, v4
	s_delay_alu instid0(VALU_DEP_1) | instskip(NEXT) | instid1(SALU_CYCLE_1)
	s_and_b32 s0, exec_lo, s0
	s_mov_b32 exec_lo, s0
	s_cbranch_execz .LBB0_47
; %bb.46:
	v_sub_nc_u32_e32 v3, 0x100, v3
	s_bcnt1_i32_b32 s0, s5
	s_delay_alu instid0(VALU_DEP_1) | instid1(SALU_CYCLE_1)
	v_mul_lo_u32 v3, v3, s0
	global_atomic_add_u32 v[0:1], v3, off
.LBB0_47:
	s_or_b32 exec_lo, exec_lo, s4
	s_and_saveexec_b32 s0, vcc_lo
	s_cbranch_execz .LBB0_57
; %bb.48:
	s_mov_b32 s5, exec_lo
	s_mov_b32 s4, exec_lo
	v_mbcnt_lo_u32_b32 v0, s5, 0
                                        ; implicit-def: $vgpr1
	s_delay_alu instid0(VALU_DEP_1)
	v_cmpx_eq_u32_e32 0, v0
	s_cbranch_execz .LBB0_50
; %bb.49:
	s_bcnt1_i32_b32 s5, s5
	v_mov_b32_e32 v1, 0
	v_mov_b32_e32 v3, s5
	global_atomic_add_u32 v1, v1, v3, s[28:29] offset:32 glc
.LBB0_50:
	s_or_b32 exec_lo, exec_lo, s4
	s_waitcnt vmcnt(0)
	v_readfirstlane_b32 s4, v1
	s_delay_alu instid0(VALU_DEP_1) | instskip(SKIP_1) | instid1(VALU_DEP_1)
	v_add_nc_u32_e32 v0, s4, v0
	s_add_i32 s4, s1, -1
	v_and_b32_e32 v1, 0xffff, v0
	s_delay_alu instid0(VALU_DEP_1) | instskip(SKIP_1) | instid1(SALU_CYCLE_1)
	v_cmp_ne_u32_e32 vcc_lo, s4, v1
	s_and_saveexec_b32 s4, vcc_lo
	s_xor_b32 s4, exec_lo, s4
	s_cbranch_execz .LBB0_54
; %bb.51:
	v_mov_b32_e32 v1, 0
	s_mov_b32 s5, 0
.LBB0_52:                               ; =>This Inner Loop Header: Depth=1
	s_sleep 1
	global_load_b32 v3, v1, s[28:29] offset:32 glc
	s_waitcnt vmcnt(0)
	v_xor_b32_e32 v3, v3, v0
	s_delay_alu instid0(VALU_DEP_1) | instskip(SKIP_1) | instid1(SALU_CYCLE_1)
	v_cmp_lt_u32_e32 vcc_lo, 0xffff, v3
	s_or_b32 s5, vcc_lo, s5
	s_and_not1_b32 exec_lo, exec_lo, s5
	s_cbranch_execnz .LBB0_52
; %bb.53:
	s_or_b32 exec_lo, exec_lo, s5
.LBB0_54:
	s_and_not1_saveexec_b32 s4, s4
	s_cbranch_execz .LBB0_57
; %bb.55:
	s_mov_b32 s4, exec_lo
	s_delay_alu instid0(SALU_CYCLE_1) | instskip(NEXT) | instid1(VALU_DEP_1)
	v_mbcnt_lo_u32_b32 v0, s4, 0
	v_cmp_eq_u32_e32 vcc_lo, 0, v0
	s_and_b32 s5, exec_lo, vcc_lo
	s_delay_alu instid0(SALU_CYCLE_1)
	s_mov_b32 exec_lo, s5
	s_cbranch_execz .LBB0_57
; %bb.56:
	s_sub_i32 s1, 0x10000, s1
	s_bcnt1_i32_b32 s4, s4
	s_delay_alu instid0(SALU_CYCLE_1) | instskip(NEXT) | instid1(SALU_CYCLE_1)
	s_mul_i32 s1, s1, s4
	v_dual_mov_b32 v0, 0 :: v_dual_mov_b32 v1, s1
	global_atomic_add_u32 v0, v1, s[28:29] offset:32
.LBB0_57:
	s_or_b32 exec_lo, exec_lo, s0
	v_or_b32_e32 v0, s2, v2
	s_waitcnt_vscnt null, 0x0
	s_barrier
	s_mov_b32 s0, exec_lo
	s_delay_alu instid0(VALU_DEP_1)
	v_cmpx_eq_u32_e32 0, v0
	s_cbranch_execz .LBB0_62
; %bb.58:
	v_mov_b32_e32 v0, 0
	s_cmp_eq_u32 s3, 0
	global_store_b32 v0, v0, s[6:7]
	s_cbranch_scc1 .LBB0_62
; %bb.59:
	s_add_i32 s0, s3, 1
	v_mov_b32_e32 v1, 0
	s_max_u32 s0, s0, 2
	s_delay_alu instid0(SALU_CYCLE_1)
	s_add_i32 s2, s0, -1
	s_add_u32 s0, s6, 4
	s_addc_u32 s1, s7, 0
.LBB0_60:                               ; =>This Inner Loop Header: Depth=1
	global_load_b32 v2, v0, s[0:1]
	s_add_i32 s2, s2, -1
	s_add_u32 s0, s0, 4
	s_addc_u32 s1, s1, 0
	s_cmp_lg_u32 s2, 0
	s_waitcnt vmcnt(0)
	v_add_nc_u32_e32 v1, v1, v2
	s_cbranch_scc1 .LBB0_60
; %bb.61:
	v_mov_b32_e32 v0, 0
	global_store_b32 v0, v1, s[6:7]
.LBB0_62:
	s_nop 0
	s_sendmsg sendmsg(MSG_DEALLOC_VGPRS)
	s_endpgm
	.section	.rodata,"a",@progbits
	.p2align	6, 0x0
	.amdhsa_kernel _ZL31kernel_cg_multi_grid_group_typePiS_S_S_S_S_S_
		.amdhsa_group_segment_fixed_size 0
		.amdhsa_private_segment_fixed_size 0
		.amdhsa_kernarg_size 312
		.amdhsa_user_sgpr_count 13
		.amdhsa_user_sgpr_dispatch_ptr 0
		.amdhsa_user_sgpr_queue_ptr 0
		.amdhsa_user_sgpr_kernarg_segment_ptr 1
		.amdhsa_user_sgpr_dispatch_id 0
		.amdhsa_user_sgpr_private_segment_size 0
		.amdhsa_wavefront_size32 1
		.amdhsa_uses_dynamic_stack 0
		.amdhsa_enable_private_segment 0
		.amdhsa_system_sgpr_workgroup_id_x 1
		.amdhsa_system_sgpr_workgroup_id_y 1
		.amdhsa_system_sgpr_workgroup_id_z 1
		.amdhsa_system_sgpr_workgroup_info 0
		.amdhsa_system_vgpr_workitem_id 2
		.amdhsa_next_free_vgpr 14
		.amdhsa_next_free_sgpr 30
		.amdhsa_reserve_vcc 1
		.amdhsa_float_round_mode_32 0
		.amdhsa_float_round_mode_16_64 0
		.amdhsa_float_denorm_mode_32 3
		.amdhsa_float_denorm_mode_16_64 3
		.amdhsa_dx10_clamp 1
		.amdhsa_ieee_mode 1
		.amdhsa_fp16_overflow 0
		.amdhsa_workgroup_processor_mode 1
		.amdhsa_memory_ordered 1
		.amdhsa_forward_progress 0
		.amdhsa_shared_vgpr_count 0
		.amdhsa_exception_fp_ieee_invalid_op 0
		.amdhsa_exception_fp_denorm_src 0
		.amdhsa_exception_fp_ieee_div_zero 0
		.amdhsa_exception_fp_ieee_overflow 0
		.amdhsa_exception_fp_ieee_underflow 0
		.amdhsa_exception_fp_ieee_inexact 0
		.amdhsa_exception_int_div_zero 0
	.end_amdhsa_kernel
	.section	.text._ZL31kernel_cg_multi_grid_group_typePiS_S_S_S_S_S_,"axG",@progbits,_ZL31kernel_cg_multi_grid_group_typePiS_S_S_S_S_S_,comdat
.Lfunc_end0:
	.size	_ZL31kernel_cg_multi_grid_group_typePiS_S_S_S_S_S_, .Lfunc_end0-_ZL31kernel_cg_multi_grid_group_typePiS_S_S_S_S_S_
                                        ; -- End function
	.section	.AMDGPU.csdata,"",@progbits
; Kernel info:
; codeLenInByte = 2116
; NumSgprs: 32
; NumVgprs: 14
; ScratchSize: 0
; MemoryBound: 0
; FloatMode: 240
; IeeeMode: 1
; LDSByteSize: 0 bytes/workgroup (compile time only)
; SGPRBlocks: 3
; VGPRBlocks: 1
; NumSGPRsForWavesPerEU: 32
; NumVGPRsForWavesPerEU: 14
; Occupancy: 16
; WaveLimiterHint : 1
; COMPUTE_PGM_RSRC2:SCRATCH_EN: 0
; COMPUTE_PGM_RSRC2:USER_SGPR: 13
; COMPUTE_PGM_RSRC2:TRAP_HANDLER: 0
; COMPUTE_PGM_RSRC2:TGID_X_EN: 1
; COMPUTE_PGM_RSRC2:TGID_Y_EN: 1
; COMPUTE_PGM_RSRC2:TGID_Z_EN: 1
; COMPUTE_PGM_RSRC2:TIDIG_COMP_CNT: 2
	.section	.text._ZL45kernel_cg_multi_grid_group_type_via_base_typePiS_S_S_S_S_,"axG",@progbits,_ZL45kernel_cg_multi_grid_group_type_via_base_typePiS_S_S_S_S_,comdat
	.globl	_ZL45kernel_cg_multi_grid_group_type_via_base_typePiS_S_S_S_S_ ; -- Begin function _ZL45kernel_cg_multi_grid_group_type_via_base_typePiS_S_S_S_S_
	.p2align	8
	.type	_ZL45kernel_cg_multi_grid_group_type_via_base_typePiS_S_S_S_S_,@function
_ZL45kernel_cg_multi_grid_group_type_via_base_typePiS_S_S_S_S_: ; @_ZL45kernel_cg_multi_grid_group_type_via_base_typePiS_S_S_S_S_
; %bb.0:
	s_clause 0x2
	s_load_b64 s[2:3], s[0:1], 0x88
	s_load_b32 s16, s[0:1], 0x3c
	s_load_b256 s[4:11], s[0:1], 0x0
	s_add_u32 s24, s0, 48
	s_addc_u32 s25, s1, 0
	s_waitcnt lgkmcnt(0)
	s_clause 0x1
	s_load_b32 s12, s[2:3], 0x8
	s_load_b128 s[20:23], s[2:3], 0x10
	v_and_b32_e32 v1, 0x3ff, v0
	s_waitcnt lgkmcnt(0)
	s_and_b32 s21, s16, 0xffff
	s_load_b128 s[16:19], s[0:1], 0x20
	v_mov_b32_e32 v10, s12
	v_mad_u64_u32 v[4:5], null, s13, s21, v[1:2]
	v_mov_b32_e32 v9, s22
	s_delay_alu instid0(VALU_DEP_2) | instskip(NEXT) | instid1(VALU_DEP_1)
	v_ashrrev_i32_e32 v5, 31, v4
	v_lshlrev_b64 v[2:3], 2, v[4:5]
	s_delay_alu instid0(VALU_DEP_1) | instskip(NEXT) | instid1(VALU_DEP_2)
	v_add_co_u32 v5, vcc_lo, s6, v2
	v_add_co_ci_u32_e32 v6, vcc_lo, s7, v3, vcc_lo
	v_add_co_u32 v7, vcc_lo, s4, v2
	v_add_co_ci_u32_e32 v8, vcc_lo, s5, v3, vcc_lo
	global_store_b32 v[5:6], v9, off
	global_store_b32 v[7:8], v10, off
	s_clause 0x1
	s_load_b32 s0, s[24:25], 0x40
	s_load_b32 s1, s[24:25], 0x0
	s_waitcnt lgkmcnt(0)
	v_cmp_lt_i16_e64 s4, s0, 2
	s_delay_alu instid0(VALU_DEP_1)
	s_and_b32 vcc_lo, exec_lo, s4
	s_cbranch_vccnz .LBB1_5
; %bb.1:
	v_cmp_lt_i16_e64 s4, s0, 3
	s_delay_alu instid0(VALU_DEP_1)
	s_and_b32 vcc_lo, exec_lo, s4
	s_cbranch_vccnz .LBB1_6
; %bb.2:
	v_cmp_eq_u16_e64 s4, s0, 3
	v_mov_b32_e32 v6, 0
	v_mov_b32_e32 v7, 0
	s_delay_alu instid0(VALU_DEP_3)
	s_and_b32 vcc_lo, exec_lo, s4
	s_cbranch_vccz .LBB1_4
; %bb.3:
	v_mov_b32_e32 v5, 0
	v_bfe_u32 v6, v0, 10, 10
	v_bfe_u32 v7, v0, 20, 10
	s_load_b32 s4, s[24:25], 0x4
	global_load_b32 v8, v5, s[24:25] offset:14
	s_waitcnt vmcnt(0)
	v_and_b32_e32 v10, 0xffff, v8
	v_lshrrev_b32_e32 v12, 16, v8
	s_delay_alu instid0(VALU_DEP_2) | instskip(SKIP_4) | instid1(VALU_DEP_3)
	v_mad_u64_u32 v[8:9], null, s14, v10, v[6:7]
	s_waitcnt lgkmcnt(0)
	v_mul_lo_u32 v13, s4, v10
	v_mov_b32_e32 v9, v5
	s_mul_i32 s4, s1, s21
	v_mad_u64_u32 v[10:11], null, s15, v12, v[7:8]
	s_delay_alu instid0(VALU_DEP_1) | instskip(NEXT) | instid1(VALU_DEP_1)
	v_mad_u64_u32 v[11:12], null, v10, v13, v[8:9]
	v_mad_u64_u32 v[6:7], null, v11, s4, v[4:5]
	s_delay_alu instid0(VALU_DEP_1) | instskip(NEXT) | instid1(VALU_DEP_1)
	v_mov_b32_e32 v5, v7
	v_mad_u64_u32 v[7:8], null, v12, s4, v[5:6]
.LBB1_4:
	s_cbranch_execz .LBB1_7
	s_branch .LBB1_8
.LBB1_5:
                                        ; implicit-def: $vgpr6_vgpr7
	s_branch .LBB1_9
.LBB1_6:
                                        ; implicit-def: $vgpr6_vgpr7
.LBB1_7:
	s_load_b64 s[4:5], s[24:25], 0xc
	v_bfe_u32 v5, v0, 10, 10
	s_waitcnt lgkmcnt(0)
	s_lshr_b32 s4, s4, 16
	s_lshr_b32 s5, s5, 16
	s_delay_alu instid0(VALU_DEP_1) | instskip(SKIP_2) | instid1(SALU_CYCLE_1)
	v_mad_u64_u32 v[8:9], null, s14, s4, v[5:6]
	v_mov_b32_e32 v5, 0
	s_mul_i32 s4, s1, s21
	s_add_i32 s4, s4, s5
	s_delay_alu instid0(VALU_DEP_1) | instid1(SALU_CYCLE_1)
	v_mad_u64_u32 v[6:7], null, v8, s4, v[4:5]
.LBB1_8:
	s_cbranch_execnz .LBB1_11
.LBB1_9:
	v_cmp_ne_u16_e64 s0, s0, 1
	v_mov_b32_e32 v6, 0
	v_mov_b32_e32 v7, 0
	s_delay_alu instid0(VALU_DEP_3)
	s_and_b32 vcc_lo, exec_lo, s0
	s_cbranch_vccnz .LBB1_11
; %bb.10:
	v_dual_mov_b32 v7, v5 :: v_dual_mov_b32 v6, v4
.LBB1_11:
	v_add_co_u32 v4, vcc_lo, s8, v2
	s_delay_alu instid0(VALU_DEP_2)
	v_add_nc_u32_e32 v6, s20, v6
	v_add_co_ci_u32_e32 v5, vcc_lo, s9, v3, vcc_lo
	s_cmp_eq_u64 s[2:3], 0
	global_store_b32 v[4:5], v6, off
	s_cbranch_scc1 .LBB1_13
; %bb.12:
	s_load_b32 s0, s[2:3], 0xc
	s_waitcnt lgkmcnt(0)
	s_cmp_lg_u32 s0, 0
	s_cselect_b32 s0, -1, 0
	s_delay_alu instid0(SALU_CYCLE_1)
	v_cndmask_b32_e64 v5, 0, 1, s0
	s_branch .LBB1_14
.LBB1_13:
	v_mov_b32_e32 v5, 0
.LBB1_14:
	v_bfe_u32 v4, v0, 10, 10
	v_bfe_u32 v0, v0, 20, 10
	v_add_co_u32 v6, vcc_lo, s10, v2
	v_add_co_ci_u32_e32 v7, vcc_lo, s11, v3, vcc_lo
	s_delay_alu instid0(VALU_DEP_3) | instskip(SKIP_2) | instid1(VALU_DEP_3)
	v_or3_b32 v8, v1, v4, v0
	v_add_co_u32 v2, vcc_lo, s16, v2
	v_add_co_ci_u32_e32 v3, vcc_lo, s17, v3, vcc_lo
	v_cmp_eq_u32_e32 vcc_lo, 0, v8
	v_mov_b32_e32 v9, 1
	global_store_b32 v[6:7], v5, off
	global_store_b32 v[2:3], v9, off
	s_waitcnt_vscnt null, 0x0
	buffer_gl1_inv
	buffer_gl0_inv
	s_barrier
	s_and_saveexec_b32 s4, vcc_lo
	s_cbranch_execz .LBB1_24
; %bb.15:
	v_mov_b32_e32 v5, 0
	s_mov_b32 s5, exec_lo
	s_mov_b32 s6, exec_lo
	v_mbcnt_lo_u32_b32 v3, s5, 0
                                        ; implicit-def: $vgpr6
	global_load_b32 v2, v5, s[2:3] offset:40
	v_cmpx_eq_u32_e32 0, v3
	s_cbranch_execz .LBB1_17
; %bb.16:
	s_bcnt1_i32_b32 s0, s5
	s_delay_alu instid0(SALU_CYCLE_1)
	v_mov_b32_e32 v6, s0
	global_atomic_add_u32 v6, v5, v6, s[2:3] offset:32 glc
.LBB1_17:
	s_or_b32 exec_lo, exec_lo, s6
	s_waitcnt vmcnt(0)
	v_readfirstlane_b32 s0, v6
	v_add_nc_u32_e32 v6, -1, v2
	s_mov_b32 s5, exec_lo
	s_delay_alu instid0(VALU_DEP_2) | instskip(NEXT) | instid1(VALU_DEP_1)
	v_add_nc_u32_e32 v3, s0, v3
	v_and_b32_e32 v5, 0xffff, v3
	s_delay_alu instid0(VALU_DEP_1)
	v_cmpx_ne_u32_e64 v5, v6
	s_xor_b32 s5, exec_lo, s5
	s_cbranch_execz .LBB1_21
; %bb.18:
	v_mov_b32_e32 v2, 0
	s_mov_b32 s6, 0
.LBB1_19:                               ; =>This Inner Loop Header: Depth=1
	s_sleep 1
	global_load_b32 v5, v2, s[2:3] offset:32 glc
	s_waitcnt vmcnt(0)
	v_xor_b32_e32 v5, v5, v3
	s_delay_alu instid0(VALU_DEP_1) | instskip(NEXT) | instid1(VALU_DEP_1)
	v_cmp_lt_u32_e64 s0, 0xffff, v5
	s_or_b32 s6, s0, s6
	s_delay_alu instid0(SALU_CYCLE_1)
	s_and_not1_b32 exec_lo, exec_lo, s6
	s_cbranch_execnz .LBB1_19
; %bb.20:
	s_or_b32 exec_lo, exec_lo, s6
                                        ; implicit-def: $vgpr2
.LBB1_21:
	s_and_not1_saveexec_b32 s0, s5
	s_cbranch_execz .LBB1_24
; %bb.22:
	s_mov_b32 s5, exec_lo
	s_delay_alu instid0(SALU_CYCLE_1) | instskip(NEXT) | instid1(VALU_DEP_1)
	v_mbcnt_lo_u32_b32 v3, s5, 0
	v_cmp_eq_u32_e64 s0, 0, v3
	s_delay_alu instid0(VALU_DEP_1) | instskip(NEXT) | instid1(SALU_CYCLE_1)
	s_and_b32 s0, exec_lo, s0
	s_mov_b32 exec_lo, s0
	s_cbranch_execz .LBB1_24
; %bb.23:
	v_sub_nc_u32_e32 v2, 0x10000, v2
	s_bcnt1_i32_b32 s0, s5
	v_mov_b32_e32 v3, 0
	s_delay_alu instid0(VALU_DEP_2)
	v_mul_lo_u32 v2, v2, s0
	global_atomic_add_u32 v3, v2, s[2:3] offset:32
.LBB1_24:
	s_or_b32 exec_lo, exec_lo, s4
	v_or_b32_e32 v2, s13, v1
	s_mov_b32 s4, exec_lo
	s_waitcnt_vscnt null, 0x0
	s_barrier
	s_delay_alu instid0(VALU_DEP_1)
	v_cmpx_eq_u32_e32 0, v2
	s_cbranch_execz .LBB1_30
; %bb.25:
	v_mov_b32_e32 v5, 0
	s_mul_i32 s0, s1, s21
	s_delay_alu instid0(SALU_CYCLE_1)
	s_cmp_lt_u32 s0, 2
	global_load_b32 v3, v5, s[16:17]
	s_cbranch_scc1 .LBB1_29
; %bb.26:
	s_add_i32 s5, s0, -1
	s_add_u32 s0, s16, 4
	s_addc_u32 s1, s17, 0
.LBB1_27:                               ; =>This Inner Loop Header: Depth=1
	global_load_b32 v6, v5, s[0:1]
	s_add_i32 s5, s5, -1
	s_add_u32 s0, s0, 4
	s_addc_u32 s1, s1, 0
	s_cmp_eq_u32 s5, 0
	s_waitcnt vmcnt(0)
	v_add_nc_u32_e32 v3, v3, v6
	s_cbranch_scc0 .LBB1_27
; %bb.28:
	v_mov_b32_e32 v5, 0
	global_store_b32 v5, v3, s[16:17]
.LBB1_29:
	s_add_i32 s0, s12, 1
	s_mov_b32 s1, 0
	v_mov_b32_e32 v5, 0
	s_lshl_b64 s[0:1], s[0:1], 2
	s_delay_alu instid0(SALU_CYCLE_1)
	s_add_u32 s0, s18, s0
	s_addc_u32 s1, s19, s1
	s_waitcnt vmcnt(0)
	global_store_b32 v5, v3, s[0:1]
.LBB1_30:
	s_or_b32 exec_lo, exec_lo, s4
	v_mov_b32_e32 v3, 0
	s_waitcnt_vscnt null, 0x0
	buffer_gl1_inv
	buffer_gl0_inv
	s_barrier
	global_load_b32 v3, v3, s[2:3] offset:40
	s_waitcnt vmcnt(0)
	v_readfirstlane_b32 s1, v3
	s_and_saveexec_b32 s4, vcc_lo
	s_cbranch_execz .LBB1_40
; %bb.31:
	s_mov_b32 s6, exec_lo
	s_mov_b32 s5, exec_lo
	v_mbcnt_lo_u32_b32 v3, s6, 0
                                        ; implicit-def: $vgpr5
	s_delay_alu instid0(VALU_DEP_1)
	v_cmpx_eq_u32_e32 0, v3
	s_cbranch_execz .LBB1_33
; %bb.32:
	s_bcnt1_i32_b32 s0, s6
	s_delay_alu instid0(SALU_CYCLE_1)
	v_dual_mov_b32 v5, 0 :: v_dual_mov_b32 v6, s0
	global_atomic_add_u32 v5, v5, v6, s[2:3] offset:32 glc
.LBB1_33:
	s_or_b32 exec_lo, exec_lo, s5
	s_waitcnt vmcnt(0)
	v_readfirstlane_b32 s0, v5
	s_mov_b32 s5, exec_lo
	s_delay_alu instid0(VALU_DEP_1) | instskip(SKIP_1) | instid1(VALU_DEP_1)
	v_add_nc_u32_e32 v3, s0, v3
	s_add_i32 s0, s1, -1
	v_and_b32_e32 v5, 0xffff, v3
	s_delay_alu instid0(VALU_DEP_1)
	v_cmpx_ne_u32_e64 s0, v5
	s_xor_b32 s5, exec_lo, s5
	s_cbranch_execz .LBB1_37
; %bb.34:
	v_mov_b32_e32 v5, 0
	s_mov_b32 s6, 0
.LBB1_35:                               ; =>This Inner Loop Header: Depth=1
	s_sleep 1
	global_load_b32 v6, v5, s[2:3] offset:32 glc
	s_waitcnt vmcnt(0)
	v_xor_b32_e32 v6, v6, v3
	s_delay_alu instid0(VALU_DEP_1) | instskip(NEXT) | instid1(VALU_DEP_1)
	v_cmp_lt_u32_e64 s0, 0xffff, v6
	s_or_b32 s6, s0, s6
	s_delay_alu instid0(SALU_CYCLE_1)
	s_and_not1_b32 exec_lo, exec_lo, s6
	s_cbranch_execnz .LBB1_35
; %bb.36:
	s_or_b32 exec_lo, exec_lo, s6
.LBB1_37:
	s_and_not1_saveexec_b32 s0, s5
	s_cbranch_execz .LBB1_40
; %bb.38:
	s_mov_b32 s5, exec_lo
	s_delay_alu instid0(SALU_CYCLE_1) | instskip(NEXT) | instid1(VALU_DEP_1)
	v_mbcnt_lo_u32_b32 v3, s5, 0
	v_cmp_eq_u32_e64 s0, 0, v3
	s_delay_alu instid0(VALU_DEP_1) | instskip(NEXT) | instid1(SALU_CYCLE_1)
	s_and_b32 s0, exec_lo, s0
	s_mov_b32 exec_lo, s0
	s_cbranch_execz .LBB1_40
; %bb.39:
	s_sub_i32 s0, 0x10000, s1
	s_bcnt1_i32_b32 s5, s5
	v_mov_b32_e32 v3, 0
	s_mul_i32 s0, s0, s5
	s_delay_alu instid0(SALU_CYCLE_1)
	v_mov_b32_e32 v5, s0
	global_atomic_add_u32 v3, v5, s[2:3] offset:32
.LBB1_40:
	s_or_b32 exec_lo, exec_lo, s4
	s_or_b32 s0, s14, s15
	s_mov_b32 s4, exec_lo
	v_or3_b32 v1, s0, s13, v1
	s_delay_alu instid0(VALU_DEP_1) | instskip(NEXT) | instid1(VALU_DEP_1)
	v_or3_b32 v0, v1, v4, v0
	v_cmpx_eq_u32_e32 0, v0
	s_cbranch_execz .LBB1_50
; %bb.41:
	v_mov_b32_e32 v3, 0
	s_mov_b32 s5, exec_lo
	s_mov_b32 s6, exec_lo
	v_mbcnt_lo_u32_b32 v4, s5, 0
                                        ; implicit-def: $vgpr5
	s_clause 0x1
	global_load_b64 v[0:1], v3, s[2:3]
	global_load_b32 v3, v3, s[2:3] offset:12
	v_cmpx_eq_u32_e32 0, v4
	s_cbranch_execz .LBB1_43
; %bb.42:
	s_bcnt1_i32_b32 s0, s5
	s_delay_alu instid0(SALU_CYCLE_1)
	v_mov_b32_e32 v5, s0
	s_waitcnt vmcnt(1)
	global_atomic_add_u32 v5, v[0:1], v5, off glc
.LBB1_43:
	s_or_b32 exec_lo, exec_lo, s6
	s_waitcnt vmcnt(0)
	v_readfirstlane_b32 s0, v5
	v_add_nc_u32_e32 v6, -1, v3
	s_mov_b32 s5, exec_lo
	s_delay_alu instid0(VALU_DEP_2) | instskip(NEXT) | instid1(VALU_DEP_1)
	v_add_nc_u32_e32 v4, s0, v4
	v_and_b32_e32 v5, 0xff, v4
	s_delay_alu instid0(VALU_DEP_1)
	v_cmpx_ne_u32_e64 v5, v6
	s_xor_b32 s5, exec_lo, s5
	s_cbranch_execz .LBB1_47
; %bb.44:
	s_mov_b32 s6, 0
.LBB1_45:                               ; =>This Inner Loop Header: Depth=1
	s_sleep 2
	global_load_b32 v3, v[0:1], off glc
	s_waitcnt vmcnt(0)
	v_xor_b32_e32 v3, v3, v4
	s_delay_alu instid0(VALU_DEP_1) | instskip(NEXT) | instid1(VALU_DEP_1)
	v_cmp_lt_u32_e64 s0, 0xff, v3
	s_or_b32 s6, s0, s6
	s_delay_alu instid0(SALU_CYCLE_1)
	s_and_not1_b32 exec_lo, exec_lo, s6
	s_cbranch_execnz .LBB1_45
; %bb.46:
	s_or_b32 exec_lo, exec_lo, s6
                                        ; implicit-def: $vgpr3
                                        ; implicit-def: $vgpr0_vgpr1
.LBB1_47:
	s_and_not1_saveexec_b32 s0, s5
	s_cbranch_execz .LBB1_50
; %bb.48:
	s_mov_b32 s5, exec_lo
	s_delay_alu instid0(SALU_CYCLE_1) | instskip(NEXT) | instid1(VALU_DEP_1)
	v_mbcnt_lo_u32_b32 v4, s5, 0
	v_cmp_eq_u32_e64 s0, 0, v4
	s_delay_alu instid0(VALU_DEP_1) | instskip(NEXT) | instid1(SALU_CYCLE_1)
	s_and_b32 s0, exec_lo, s0
	s_mov_b32 exec_lo, s0
	s_cbranch_execz .LBB1_50
; %bb.49:
	v_sub_nc_u32_e32 v3, 0x100, v3
	s_bcnt1_i32_b32 s0, s5
	s_delay_alu instid0(VALU_DEP_1) | instid1(SALU_CYCLE_1)
	v_mul_lo_u32 v3, v3, s0
	global_atomic_add_u32 v[0:1], v3, off
.LBB1_50:
	s_or_b32 exec_lo, exec_lo, s4
	s_and_saveexec_b32 s0, vcc_lo
	s_cbranch_execz .LBB1_60
; %bb.51:
	s_mov_b32 s5, exec_lo
	s_mov_b32 s4, exec_lo
	v_mbcnt_lo_u32_b32 v0, s5, 0
                                        ; implicit-def: $vgpr1
	s_delay_alu instid0(VALU_DEP_1)
	v_cmpx_eq_u32_e32 0, v0
	s_cbranch_execz .LBB1_53
; %bb.52:
	s_bcnt1_i32_b32 s5, s5
	v_mov_b32_e32 v1, 0
	v_mov_b32_e32 v3, s5
	global_atomic_add_u32 v1, v1, v3, s[2:3] offset:32 glc
.LBB1_53:
	s_or_b32 exec_lo, exec_lo, s4
	s_waitcnt vmcnt(0)
	v_readfirstlane_b32 s4, v1
	s_delay_alu instid0(VALU_DEP_1) | instskip(SKIP_1) | instid1(VALU_DEP_1)
	v_add_nc_u32_e32 v0, s4, v0
	s_add_i32 s4, s1, -1
	v_and_b32_e32 v1, 0xffff, v0
	s_delay_alu instid0(VALU_DEP_1) | instskip(SKIP_1) | instid1(SALU_CYCLE_1)
	v_cmp_ne_u32_e32 vcc_lo, s4, v1
	s_and_saveexec_b32 s4, vcc_lo
	s_xor_b32 s4, exec_lo, s4
	s_cbranch_execz .LBB1_57
; %bb.54:
	v_mov_b32_e32 v1, 0
	s_mov_b32 s5, 0
.LBB1_55:                               ; =>This Inner Loop Header: Depth=1
	s_sleep 1
	global_load_b32 v3, v1, s[2:3] offset:32 glc
	s_waitcnt vmcnt(0)
	v_xor_b32_e32 v3, v3, v0
	s_delay_alu instid0(VALU_DEP_1) | instskip(SKIP_1) | instid1(SALU_CYCLE_1)
	v_cmp_lt_u32_e32 vcc_lo, 0xffff, v3
	s_or_b32 s5, vcc_lo, s5
	s_and_not1_b32 exec_lo, exec_lo, s5
	s_cbranch_execnz .LBB1_55
; %bb.56:
	s_or_b32 exec_lo, exec_lo, s5
.LBB1_57:
	s_and_not1_saveexec_b32 s4, s4
	s_cbranch_execz .LBB1_60
; %bb.58:
	s_mov_b32 s4, exec_lo
	s_delay_alu instid0(SALU_CYCLE_1) | instskip(NEXT) | instid1(VALU_DEP_1)
	v_mbcnt_lo_u32_b32 v0, s4, 0
	v_cmp_eq_u32_e32 vcc_lo, 0, v0
	s_and_b32 s5, exec_lo, vcc_lo
	s_delay_alu instid0(SALU_CYCLE_1)
	s_mov_b32 exec_lo, s5
	s_cbranch_execz .LBB1_60
; %bb.59:
	s_sub_i32 s1, 0x10000, s1
	s_bcnt1_i32_b32 s4, s4
	s_delay_alu instid0(SALU_CYCLE_1) | instskip(NEXT) | instid1(SALU_CYCLE_1)
	s_mul_i32 s1, s1, s4
	v_dual_mov_b32 v0, 0 :: v_dual_mov_b32 v1, s1
	global_atomic_add_u32 v0, v1, s[2:3] offset:32
.LBB1_60:
	s_or_b32 exec_lo, exec_lo, s0
	v_or_b32_e32 v0, s12, v2
	s_waitcnt_vscnt null, 0x0
	s_barrier
	s_mov_b32 s0, exec_lo
	s_delay_alu instid0(VALU_DEP_1)
	v_cmpx_eq_u32_e32 0, v0
	s_cbranch_execz .LBB1_65
; %bb.61:
	v_mov_b32_e32 v0, 0
	global_store_b32 v0, v0, s[18:19]
	s_load_b32 s0, s[2:3], 0xc
	s_waitcnt lgkmcnt(0)
	s_cmp_eq_u32 s0, 0
	s_cbranch_scc1 .LBB1_65
; %bb.62:
	s_add_i32 s0, s0, 1
	v_mov_b32_e32 v1, 0
	s_max_u32 s0, s0, 2
	s_delay_alu instid0(SALU_CYCLE_1)
	s_add_i32 s2, s0, -1
	s_add_u32 s0, s18, 4
	s_addc_u32 s1, s19, 0
.LBB1_63:                               ; =>This Inner Loop Header: Depth=1
	global_load_b32 v2, v0, s[0:1]
	s_add_i32 s2, s2, -1
	s_add_u32 s0, s0, 4
	s_addc_u32 s1, s1, 0
	s_cmp_lg_u32 s2, 0
	s_waitcnt vmcnt(0)
	v_add_nc_u32_e32 v1, v1, v2
	s_cbranch_scc1 .LBB1_63
; %bb.64:
	v_mov_b32_e32 v0, 0
	global_store_b32 v0, v1, s[18:19]
.LBB1_65:
	s_nop 0
	s_sendmsg sendmsg(MSG_DEALLOC_VGPRS)
	s_endpgm
	.section	.rodata,"a",@progbits
	.p2align	6, 0x0
	.amdhsa_kernel _ZL45kernel_cg_multi_grid_group_type_via_base_typePiS_S_S_S_S_
		.amdhsa_group_segment_fixed_size 0
		.amdhsa_private_segment_fixed_size 0
		.amdhsa_kernarg_size 304
		.amdhsa_user_sgpr_count 13
		.amdhsa_user_sgpr_dispatch_ptr 0
		.amdhsa_user_sgpr_queue_ptr 0
		.amdhsa_user_sgpr_kernarg_segment_ptr 1
		.amdhsa_user_sgpr_dispatch_id 0
		.amdhsa_user_sgpr_private_segment_size 0
		.amdhsa_wavefront_size32 1
		.amdhsa_uses_dynamic_stack 0
		.amdhsa_enable_private_segment 0
		.amdhsa_system_sgpr_workgroup_id_x 1
		.amdhsa_system_sgpr_workgroup_id_y 1
		.amdhsa_system_sgpr_workgroup_id_z 1
		.amdhsa_system_sgpr_workgroup_info 0
		.amdhsa_system_vgpr_workitem_id 2
		.amdhsa_next_free_vgpr 14
		.amdhsa_next_free_sgpr 26
		.amdhsa_reserve_vcc 1
		.amdhsa_float_round_mode_32 0
		.amdhsa_float_round_mode_16_64 0
		.amdhsa_float_denorm_mode_32 3
		.amdhsa_float_denorm_mode_16_64 3
		.amdhsa_dx10_clamp 1
		.amdhsa_ieee_mode 1
		.amdhsa_fp16_overflow 0
		.amdhsa_workgroup_processor_mode 1
		.amdhsa_memory_ordered 1
		.amdhsa_forward_progress 0
		.amdhsa_shared_vgpr_count 0
		.amdhsa_exception_fp_ieee_invalid_op 0
		.amdhsa_exception_fp_denorm_src 0
		.amdhsa_exception_fp_ieee_div_zero 0
		.amdhsa_exception_fp_ieee_overflow 0
		.amdhsa_exception_fp_ieee_underflow 0
		.amdhsa_exception_fp_ieee_inexact 0
		.amdhsa_exception_int_div_zero 0
	.end_amdhsa_kernel
	.section	.text._ZL45kernel_cg_multi_grid_group_type_via_base_typePiS_S_S_S_S_,"axG",@progbits,_ZL45kernel_cg_multi_grid_group_type_via_base_typePiS_S_S_S_S_,comdat
.Lfunc_end1:
	.size	_ZL45kernel_cg_multi_grid_group_type_via_base_typePiS_S_S_S_S_, .Lfunc_end1-_ZL45kernel_cg_multi_grid_group_type_via_base_typePiS_S_S_S_S_
                                        ; -- End function
	.section	.AMDGPU.csdata,"",@progbits
; Kernel info:
; codeLenInByte = 2124
; NumSgprs: 28
; NumVgprs: 14
; ScratchSize: 0
; MemoryBound: 0
; FloatMode: 240
; IeeeMode: 1
; LDSByteSize: 0 bytes/workgroup (compile time only)
; SGPRBlocks: 3
; VGPRBlocks: 1
; NumSGPRsForWavesPerEU: 28
; NumVGPRsForWavesPerEU: 14
; Occupancy: 16
; WaveLimiterHint : 1
; COMPUTE_PGM_RSRC2:SCRATCH_EN: 0
; COMPUTE_PGM_RSRC2:USER_SGPR: 13
; COMPUTE_PGM_RSRC2:TRAP_HANDLER: 0
; COMPUTE_PGM_RSRC2:TGID_X_EN: 1
; COMPUTE_PGM_RSRC2:TGID_Y_EN: 1
; COMPUTE_PGM_RSRC2:TGID_Z_EN: 1
; COMPUTE_PGM_RSRC2:TIDIG_COMP_CNT: 2
	.section	.text._ZL46kernel_cg_multi_grid_group_type_via_public_apiPiS_S_S_S_S_,"axG",@progbits,_ZL46kernel_cg_multi_grid_group_type_via_public_apiPiS_S_S_S_S_,comdat
	.globl	_ZL46kernel_cg_multi_grid_group_type_via_public_apiPiS_S_S_S_S_ ; -- Begin function _ZL46kernel_cg_multi_grid_group_type_via_public_apiPiS_S_S_S_S_
	.p2align	8
	.type	_ZL46kernel_cg_multi_grid_group_type_via_public_apiPiS_S_S_S_S_,@function
_ZL46kernel_cg_multi_grid_group_type_via_public_apiPiS_S_S_S_S_: ; @_ZL46kernel_cg_multi_grid_group_type_via_public_apiPiS_S_S_S_S_
; %bb.0:
	s_clause 0x2
	s_load_b64 s[2:3], s[0:1], 0x88
	s_load_b32 s16, s[0:1], 0x3c
	s_load_b256 s[4:11], s[0:1], 0x0
	s_add_u32 s24, s0, 48
	s_addc_u32 s25, s1, 0
	s_waitcnt lgkmcnt(0)
	s_clause 0x1
	s_load_b32 s12, s[2:3], 0x8
	s_load_b128 s[20:23], s[2:3], 0x10
	v_and_b32_e32 v1, 0x3ff, v0
	s_waitcnt lgkmcnt(0)
	s_and_b32 s21, s16, 0xffff
	s_load_b128 s[16:19], s[0:1], 0x20
	v_mov_b32_e32 v10, s12
	v_mad_u64_u32 v[4:5], null, s13, s21, v[1:2]
	v_mov_b32_e32 v9, s22
	s_delay_alu instid0(VALU_DEP_2) | instskip(NEXT) | instid1(VALU_DEP_1)
	v_ashrrev_i32_e32 v5, 31, v4
	v_lshlrev_b64 v[2:3], 2, v[4:5]
	s_delay_alu instid0(VALU_DEP_1) | instskip(NEXT) | instid1(VALU_DEP_2)
	v_add_co_u32 v5, vcc_lo, s6, v2
	v_add_co_ci_u32_e32 v6, vcc_lo, s7, v3, vcc_lo
	v_add_co_u32 v7, vcc_lo, s4, v2
	v_add_co_ci_u32_e32 v8, vcc_lo, s5, v3, vcc_lo
	global_store_b32 v[5:6], v9, off
	global_store_b32 v[7:8], v10, off
	s_clause 0x1
	s_load_b32 s0, s[24:25], 0x40
	s_load_b32 s1, s[24:25], 0x0
	s_waitcnt lgkmcnt(0)
	v_cmp_lt_i16_e64 s4, s0, 2
	s_delay_alu instid0(VALU_DEP_1)
	s_and_b32 vcc_lo, exec_lo, s4
	s_cbranch_vccnz .LBB2_5
; %bb.1:
	v_cmp_lt_i16_e64 s4, s0, 3
	s_delay_alu instid0(VALU_DEP_1)
	s_and_b32 vcc_lo, exec_lo, s4
	s_cbranch_vccnz .LBB2_6
; %bb.2:
	v_cmp_eq_u16_e64 s4, s0, 3
	v_mov_b32_e32 v6, 0
	v_mov_b32_e32 v7, 0
	s_delay_alu instid0(VALU_DEP_3)
	s_and_b32 vcc_lo, exec_lo, s4
	s_cbranch_vccz .LBB2_4
; %bb.3:
	v_mov_b32_e32 v5, 0
	v_bfe_u32 v6, v0, 10, 10
	v_bfe_u32 v7, v0, 20, 10
	s_load_b32 s4, s[24:25], 0x4
	global_load_b32 v8, v5, s[24:25] offset:14
	s_waitcnt vmcnt(0)
	v_and_b32_e32 v10, 0xffff, v8
	v_lshrrev_b32_e32 v12, 16, v8
	s_delay_alu instid0(VALU_DEP_2) | instskip(SKIP_4) | instid1(VALU_DEP_3)
	v_mad_u64_u32 v[8:9], null, s14, v10, v[6:7]
	s_waitcnt lgkmcnt(0)
	v_mul_lo_u32 v13, s4, v10
	v_mov_b32_e32 v9, v5
	s_mul_i32 s4, s1, s21
	v_mad_u64_u32 v[10:11], null, s15, v12, v[7:8]
	s_delay_alu instid0(VALU_DEP_1) | instskip(NEXT) | instid1(VALU_DEP_1)
	v_mad_u64_u32 v[11:12], null, v10, v13, v[8:9]
	v_mad_u64_u32 v[6:7], null, v11, s4, v[4:5]
	s_delay_alu instid0(VALU_DEP_1) | instskip(NEXT) | instid1(VALU_DEP_1)
	v_mov_b32_e32 v5, v7
	v_mad_u64_u32 v[7:8], null, v12, s4, v[5:6]
.LBB2_4:
	s_cbranch_execz .LBB2_7
	s_branch .LBB2_8
.LBB2_5:
                                        ; implicit-def: $vgpr6_vgpr7
	s_branch .LBB2_9
.LBB2_6:
                                        ; implicit-def: $vgpr6_vgpr7
.LBB2_7:
	s_load_b64 s[4:5], s[24:25], 0xc
	v_bfe_u32 v5, v0, 10, 10
	s_waitcnt lgkmcnt(0)
	s_lshr_b32 s4, s4, 16
	s_lshr_b32 s5, s5, 16
	s_delay_alu instid0(VALU_DEP_1) | instskip(SKIP_2) | instid1(SALU_CYCLE_1)
	v_mad_u64_u32 v[8:9], null, s14, s4, v[5:6]
	v_mov_b32_e32 v5, 0
	s_mul_i32 s4, s1, s21
	s_add_i32 s4, s4, s5
	s_delay_alu instid0(VALU_DEP_1) | instid1(SALU_CYCLE_1)
	v_mad_u64_u32 v[6:7], null, v8, s4, v[4:5]
.LBB2_8:
	s_cbranch_execnz .LBB2_11
.LBB2_9:
	v_cmp_ne_u16_e64 s0, s0, 1
	v_mov_b32_e32 v6, 0
	v_mov_b32_e32 v7, 0
	s_delay_alu instid0(VALU_DEP_3)
	s_and_b32 vcc_lo, exec_lo, s0
	s_cbranch_vccnz .LBB2_11
; %bb.10:
	v_dual_mov_b32 v7, v5 :: v_dual_mov_b32 v6, v4
.LBB2_11:
	v_add_co_u32 v4, vcc_lo, s8, v2
	s_delay_alu instid0(VALU_DEP_2)
	v_add_nc_u32_e32 v6, s20, v6
	v_add_co_ci_u32_e32 v5, vcc_lo, s9, v3, vcc_lo
	s_cmp_eq_u64 s[2:3], 0
	global_store_b32 v[4:5], v6, off
	s_cbranch_scc1 .LBB2_13
; %bb.12:
	s_load_b32 s0, s[2:3], 0xc
	s_waitcnt lgkmcnt(0)
	s_cmp_lg_u32 s0, 0
	s_cselect_b32 s0, -1, 0
	s_delay_alu instid0(SALU_CYCLE_1)
	v_cndmask_b32_e64 v5, 0, 1, s0
	s_branch .LBB2_14
.LBB2_13:
	v_mov_b32_e32 v5, 0
.LBB2_14:
	v_bfe_u32 v4, v0, 10, 10
	v_bfe_u32 v0, v0, 20, 10
	v_add_co_u32 v6, vcc_lo, s10, v2
	v_add_co_ci_u32_e32 v7, vcc_lo, s11, v3, vcc_lo
	s_delay_alu instid0(VALU_DEP_3) | instskip(SKIP_2) | instid1(VALU_DEP_3)
	v_or3_b32 v8, v1, v4, v0
	v_add_co_u32 v2, vcc_lo, s16, v2
	v_add_co_ci_u32_e32 v3, vcc_lo, s17, v3, vcc_lo
	v_cmp_eq_u32_e32 vcc_lo, 0, v8
	v_mov_b32_e32 v9, 1
	global_store_b32 v[6:7], v5, off
	global_store_b32 v[2:3], v9, off
	s_waitcnt_vscnt null, 0x0
	buffer_gl1_inv
	buffer_gl0_inv
	s_barrier
	s_and_saveexec_b32 s4, vcc_lo
	s_cbranch_execz .LBB2_24
; %bb.15:
	v_mov_b32_e32 v5, 0
	s_mov_b32 s5, exec_lo
	s_mov_b32 s6, exec_lo
	v_mbcnt_lo_u32_b32 v3, s5, 0
                                        ; implicit-def: $vgpr6
	global_load_b32 v2, v5, s[2:3] offset:40
	v_cmpx_eq_u32_e32 0, v3
	s_cbranch_execz .LBB2_17
; %bb.16:
	s_bcnt1_i32_b32 s0, s5
	s_delay_alu instid0(SALU_CYCLE_1)
	v_mov_b32_e32 v6, s0
	global_atomic_add_u32 v6, v5, v6, s[2:3] offset:32 glc
.LBB2_17:
	s_or_b32 exec_lo, exec_lo, s6
	s_waitcnt vmcnt(0)
	v_readfirstlane_b32 s0, v6
	v_add_nc_u32_e32 v6, -1, v2
	s_mov_b32 s5, exec_lo
	s_delay_alu instid0(VALU_DEP_2) | instskip(NEXT) | instid1(VALU_DEP_1)
	v_add_nc_u32_e32 v3, s0, v3
	v_and_b32_e32 v5, 0xffff, v3
	s_delay_alu instid0(VALU_DEP_1)
	v_cmpx_ne_u32_e64 v5, v6
	s_xor_b32 s5, exec_lo, s5
	s_cbranch_execz .LBB2_21
; %bb.18:
	v_mov_b32_e32 v2, 0
	s_mov_b32 s6, 0
.LBB2_19:                               ; =>This Inner Loop Header: Depth=1
	s_sleep 1
	global_load_b32 v5, v2, s[2:3] offset:32 glc
	s_waitcnt vmcnt(0)
	v_xor_b32_e32 v5, v5, v3
	s_delay_alu instid0(VALU_DEP_1) | instskip(NEXT) | instid1(VALU_DEP_1)
	v_cmp_lt_u32_e64 s0, 0xffff, v5
	s_or_b32 s6, s0, s6
	s_delay_alu instid0(SALU_CYCLE_1)
	s_and_not1_b32 exec_lo, exec_lo, s6
	s_cbranch_execnz .LBB2_19
; %bb.20:
	s_or_b32 exec_lo, exec_lo, s6
                                        ; implicit-def: $vgpr2
.LBB2_21:
	s_and_not1_saveexec_b32 s0, s5
	s_cbranch_execz .LBB2_24
; %bb.22:
	s_mov_b32 s5, exec_lo
	s_delay_alu instid0(SALU_CYCLE_1) | instskip(NEXT) | instid1(VALU_DEP_1)
	v_mbcnt_lo_u32_b32 v3, s5, 0
	v_cmp_eq_u32_e64 s0, 0, v3
	s_delay_alu instid0(VALU_DEP_1) | instskip(NEXT) | instid1(SALU_CYCLE_1)
	s_and_b32 s0, exec_lo, s0
	s_mov_b32 exec_lo, s0
	s_cbranch_execz .LBB2_24
; %bb.23:
	v_sub_nc_u32_e32 v2, 0x10000, v2
	s_bcnt1_i32_b32 s0, s5
	v_mov_b32_e32 v3, 0
	s_delay_alu instid0(VALU_DEP_2)
	v_mul_lo_u32 v2, v2, s0
	global_atomic_add_u32 v3, v2, s[2:3] offset:32
.LBB2_24:
	s_or_b32 exec_lo, exec_lo, s4
	v_or_b32_e32 v2, s13, v1
	s_mov_b32 s4, exec_lo
	s_waitcnt_vscnt null, 0x0
	s_barrier
	s_delay_alu instid0(VALU_DEP_1)
	v_cmpx_eq_u32_e32 0, v2
	s_cbranch_execz .LBB2_30
; %bb.25:
	v_mov_b32_e32 v5, 0
	s_mul_i32 s0, s1, s21
	s_delay_alu instid0(SALU_CYCLE_1)
	s_cmp_lt_u32 s0, 2
	global_load_b32 v3, v5, s[16:17]
	s_cbranch_scc1 .LBB2_29
; %bb.26:
	s_add_i32 s5, s0, -1
	s_add_u32 s0, s16, 4
	s_addc_u32 s1, s17, 0
.LBB2_27:                               ; =>This Inner Loop Header: Depth=1
	global_load_b32 v6, v5, s[0:1]
	s_add_i32 s5, s5, -1
	s_add_u32 s0, s0, 4
	s_addc_u32 s1, s1, 0
	s_cmp_eq_u32 s5, 0
	s_waitcnt vmcnt(0)
	v_add_nc_u32_e32 v3, v3, v6
	s_cbranch_scc0 .LBB2_27
; %bb.28:
	v_mov_b32_e32 v5, 0
	global_store_b32 v5, v3, s[16:17]
.LBB2_29:
	s_add_i32 s0, s12, 1
	s_mov_b32 s1, 0
	v_mov_b32_e32 v5, 0
	s_lshl_b64 s[0:1], s[0:1], 2
	s_delay_alu instid0(SALU_CYCLE_1)
	s_add_u32 s0, s18, s0
	s_addc_u32 s1, s19, s1
	s_waitcnt vmcnt(0)
	global_store_b32 v5, v3, s[0:1]
.LBB2_30:
	s_or_b32 exec_lo, exec_lo, s4
	v_mov_b32_e32 v3, 0
	s_waitcnt_vscnt null, 0x0
	buffer_gl1_inv
	buffer_gl0_inv
	s_barrier
	global_load_b32 v3, v3, s[2:3] offset:40
	s_waitcnt vmcnt(0)
	v_readfirstlane_b32 s1, v3
	s_and_saveexec_b32 s4, vcc_lo
	s_cbranch_execz .LBB2_40
; %bb.31:
	s_mov_b32 s6, exec_lo
	s_mov_b32 s5, exec_lo
	v_mbcnt_lo_u32_b32 v3, s6, 0
                                        ; implicit-def: $vgpr5
	s_delay_alu instid0(VALU_DEP_1)
	v_cmpx_eq_u32_e32 0, v3
	s_cbranch_execz .LBB2_33
; %bb.32:
	s_bcnt1_i32_b32 s0, s6
	s_delay_alu instid0(SALU_CYCLE_1)
	v_dual_mov_b32 v5, 0 :: v_dual_mov_b32 v6, s0
	global_atomic_add_u32 v5, v5, v6, s[2:3] offset:32 glc
.LBB2_33:
	s_or_b32 exec_lo, exec_lo, s5
	s_waitcnt vmcnt(0)
	v_readfirstlane_b32 s0, v5
	s_mov_b32 s5, exec_lo
	s_delay_alu instid0(VALU_DEP_1) | instskip(SKIP_1) | instid1(VALU_DEP_1)
	v_add_nc_u32_e32 v3, s0, v3
	s_add_i32 s0, s1, -1
	v_and_b32_e32 v5, 0xffff, v3
	s_delay_alu instid0(VALU_DEP_1)
	v_cmpx_ne_u32_e64 s0, v5
	s_xor_b32 s5, exec_lo, s5
	s_cbranch_execz .LBB2_37
; %bb.34:
	v_mov_b32_e32 v5, 0
	s_mov_b32 s6, 0
.LBB2_35:                               ; =>This Inner Loop Header: Depth=1
	s_sleep 1
	global_load_b32 v6, v5, s[2:3] offset:32 glc
	s_waitcnt vmcnt(0)
	v_xor_b32_e32 v6, v6, v3
	s_delay_alu instid0(VALU_DEP_1) | instskip(NEXT) | instid1(VALU_DEP_1)
	v_cmp_lt_u32_e64 s0, 0xffff, v6
	s_or_b32 s6, s0, s6
	s_delay_alu instid0(SALU_CYCLE_1)
	s_and_not1_b32 exec_lo, exec_lo, s6
	s_cbranch_execnz .LBB2_35
; %bb.36:
	s_or_b32 exec_lo, exec_lo, s6
.LBB2_37:
	s_and_not1_saveexec_b32 s0, s5
	s_cbranch_execz .LBB2_40
; %bb.38:
	s_mov_b32 s5, exec_lo
	s_delay_alu instid0(SALU_CYCLE_1) | instskip(NEXT) | instid1(VALU_DEP_1)
	v_mbcnt_lo_u32_b32 v3, s5, 0
	v_cmp_eq_u32_e64 s0, 0, v3
	s_delay_alu instid0(VALU_DEP_1) | instskip(NEXT) | instid1(SALU_CYCLE_1)
	s_and_b32 s0, exec_lo, s0
	s_mov_b32 exec_lo, s0
	s_cbranch_execz .LBB2_40
; %bb.39:
	s_sub_i32 s0, 0x10000, s1
	s_bcnt1_i32_b32 s5, s5
	v_mov_b32_e32 v3, 0
	s_mul_i32 s0, s0, s5
	s_delay_alu instid0(SALU_CYCLE_1)
	v_mov_b32_e32 v5, s0
	global_atomic_add_u32 v3, v5, s[2:3] offset:32
.LBB2_40:
	s_or_b32 exec_lo, exec_lo, s4
	s_or_b32 s0, s14, s15
	s_mov_b32 s4, exec_lo
	v_or3_b32 v1, s0, s13, v1
	s_delay_alu instid0(VALU_DEP_1) | instskip(NEXT) | instid1(VALU_DEP_1)
	v_or3_b32 v0, v1, v4, v0
	v_cmpx_eq_u32_e32 0, v0
	s_cbranch_execz .LBB2_50
; %bb.41:
	v_mov_b32_e32 v3, 0
	s_mov_b32 s5, exec_lo
	s_mov_b32 s6, exec_lo
	v_mbcnt_lo_u32_b32 v4, s5, 0
                                        ; implicit-def: $vgpr5
	s_clause 0x1
	global_load_b64 v[0:1], v3, s[2:3]
	global_load_b32 v3, v3, s[2:3] offset:12
	v_cmpx_eq_u32_e32 0, v4
	s_cbranch_execz .LBB2_43
; %bb.42:
	s_bcnt1_i32_b32 s0, s5
	s_delay_alu instid0(SALU_CYCLE_1)
	v_mov_b32_e32 v5, s0
	s_waitcnt vmcnt(1)
	global_atomic_add_u32 v5, v[0:1], v5, off glc
.LBB2_43:
	s_or_b32 exec_lo, exec_lo, s6
	s_waitcnt vmcnt(0)
	v_readfirstlane_b32 s0, v5
	v_add_nc_u32_e32 v6, -1, v3
	s_mov_b32 s5, exec_lo
	s_delay_alu instid0(VALU_DEP_2) | instskip(NEXT) | instid1(VALU_DEP_1)
	v_add_nc_u32_e32 v4, s0, v4
	v_and_b32_e32 v5, 0xff, v4
	s_delay_alu instid0(VALU_DEP_1)
	v_cmpx_ne_u32_e64 v5, v6
	s_xor_b32 s5, exec_lo, s5
	s_cbranch_execz .LBB2_47
; %bb.44:
	s_mov_b32 s6, 0
.LBB2_45:                               ; =>This Inner Loop Header: Depth=1
	s_sleep 2
	global_load_b32 v3, v[0:1], off glc
	s_waitcnt vmcnt(0)
	v_xor_b32_e32 v3, v3, v4
	s_delay_alu instid0(VALU_DEP_1) | instskip(NEXT) | instid1(VALU_DEP_1)
	v_cmp_lt_u32_e64 s0, 0xff, v3
	s_or_b32 s6, s0, s6
	s_delay_alu instid0(SALU_CYCLE_1)
	s_and_not1_b32 exec_lo, exec_lo, s6
	s_cbranch_execnz .LBB2_45
; %bb.46:
	s_or_b32 exec_lo, exec_lo, s6
                                        ; implicit-def: $vgpr3
                                        ; implicit-def: $vgpr0_vgpr1
.LBB2_47:
	s_and_not1_saveexec_b32 s0, s5
	s_cbranch_execz .LBB2_50
; %bb.48:
	s_mov_b32 s5, exec_lo
	s_delay_alu instid0(SALU_CYCLE_1) | instskip(NEXT) | instid1(VALU_DEP_1)
	v_mbcnt_lo_u32_b32 v4, s5, 0
	v_cmp_eq_u32_e64 s0, 0, v4
	s_delay_alu instid0(VALU_DEP_1) | instskip(NEXT) | instid1(SALU_CYCLE_1)
	s_and_b32 s0, exec_lo, s0
	s_mov_b32 exec_lo, s0
	s_cbranch_execz .LBB2_50
; %bb.49:
	v_sub_nc_u32_e32 v3, 0x100, v3
	s_bcnt1_i32_b32 s0, s5
	s_delay_alu instid0(VALU_DEP_1) | instid1(SALU_CYCLE_1)
	v_mul_lo_u32 v3, v3, s0
	global_atomic_add_u32 v[0:1], v3, off
.LBB2_50:
	s_or_b32 exec_lo, exec_lo, s4
	s_and_saveexec_b32 s0, vcc_lo
	s_cbranch_execz .LBB2_60
; %bb.51:
	s_mov_b32 s5, exec_lo
	s_mov_b32 s4, exec_lo
	v_mbcnt_lo_u32_b32 v0, s5, 0
                                        ; implicit-def: $vgpr1
	s_delay_alu instid0(VALU_DEP_1)
	v_cmpx_eq_u32_e32 0, v0
	s_cbranch_execz .LBB2_53
; %bb.52:
	s_bcnt1_i32_b32 s5, s5
	v_mov_b32_e32 v1, 0
	v_mov_b32_e32 v3, s5
	global_atomic_add_u32 v1, v1, v3, s[2:3] offset:32 glc
.LBB2_53:
	s_or_b32 exec_lo, exec_lo, s4
	s_waitcnt vmcnt(0)
	v_readfirstlane_b32 s4, v1
	s_delay_alu instid0(VALU_DEP_1) | instskip(SKIP_1) | instid1(VALU_DEP_1)
	v_add_nc_u32_e32 v0, s4, v0
	s_add_i32 s4, s1, -1
	v_and_b32_e32 v1, 0xffff, v0
	s_delay_alu instid0(VALU_DEP_1) | instskip(SKIP_1) | instid1(SALU_CYCLE_1)
	v_cmp_ne_u32_e32 vcc_lo, s4, v1
	s_and_saveexec_b32 s4, vcc_lo
	s_xor_b32 s4, exec_lo, s4
	s_cbranch_execz .LBB2_57
; %bb.54:
	v_mov_b32_e32 v1, 0
	s_mov_b32 s5, 0
.LBB2_55:                               ; =>This Inner Loop Header: Depth=1
	s_sleep 1
	global_load_b32 v3, v1, s[2:3] offset:32 glc
	s_waitcnt vmcnt(0)
	v_xor_b32_e32 v3, v3, v0
	s_delay_alu instid0(VALU_DEP_1) | instskip(SKIP_1) | instid1(SALU_CYCLE_1)
	v_cmp_lt_u32_e32 vcc_lo, 0xffff, v3
	s_or_b32 s5, vcc_lo, s5
	s_and_not1_b32 exec_lo, exec_lo, s5
	s_cbranch_execnz .LBB2_55
; %bb.56:
	s_or_b32 exec_lo, exec_lo, s5
.LBB2_57:
	s_and_not1_saveexec_b32 s4, s4
	s_cbranch_execz .LBB2_60
; %bb.58:
	s_mov_b32 s4, exec_lo
	s_delay_alu instid0(SALU_CYCLE_1) | instskip(NEXT) | instid1(VALU_DEP_1)
	v_mbcnt_lo_u32_b32 v0, s4, 0
	v_cmp_eq_u32_e32 vcc_lo, 0, v0
	s_and_b32 s5, exec_lo, vcc_lo
	s_delay_alu instid0(SALU_CYCLE_1)
	s_mov_b32 exec_lo, s5
	s_cbranch_execz .LBB2_60
; %bb.59:
	s_sub_i32 s1, 0x10000, s1
	s_bcnt1_i32_b32 s4, s4
	s_delay_alu instid0(SALU_CYCLE_1) | instskip(NEXT) | instid1(SALU_CYCLE_1)
	s_mul_i32 s1, s1, s4
	v_dual_mov_b32 v0, 0 :: v_dual_mov_b32 v1, s1
	global_atomic_add_u32 v0, v1, s[2:3] offset:32
.LBB2_60:
	s_or_b32 exec_lo, exec_lo, s0
	v_or_b32_e32 v0, s12, v2
	s_waitcnt_vscnt null, 0x0
	s_barrier
	s_mov_b32 s0, exec_lo
	s_delay_alu instid0(VALU_DEP_1)
	v_cmpx_eq_u32_e32 0, v0
	s_cbranch_execz .LBB2_65
; %bb.61:
	v_mov_b32_e32 v0, 0
	global_store_b32 v0, v0, s[18:19]
	s_load_b32 s0, s[2:3], 0xc
	s_waitcnt lgkmcnt(0)
	s_cmp_eq_u32 s0, 0
	s_cbranch_scc1 .LBB2_65
; %bb.62:
	s_add_i32 s0, s0, 1
	v_mov_b32_e32 v1, 0
	s_max_u32 s0, s0, 2
	s_delay_alu instid0(SALU_CYCLE_1)
	s_add_i32 s2, s0, -1
	s_add_u32 s0, s18, 4
	s_addc_u32 s1, s19, 0
.LBB2_63:                               ; =>This Inner Loop Header: Depth=1
	global_load_b32 v2, v0, s[0:1]
	s_add_i32 s2, s2, -1
	s_add_u32 s0, s0, 4
	s_addc_u32 s1, s1, 0
	s_cmp_lg_u32 s2, 0
	s_waitcnt vmcnt(0)
	v_add_nc_u32_e32 v1, v1, v2
	s_cbranch_scc1 .LBB2_63
; %bb.64:
	v_mov_b32_e32 v0, 0
	global_store_b32 v0, v1, s[18:19]
.LBB2_65:
	s_nop 0
	s_sendmsg sendmsg(MSG_DEALLOC_VGPRS)
	s_endpgm
	.section	.rodata,"a",@progbits
	.p2align	6, 0x0
	.amdhsa_kernel _ZL46kernel_cg_multi_grid_group_type_via_public_apiPiS_S_S_S_S_
		.amdhsa_group_segment_fixed_size 0
		.amdhsa_private_segment_fixed_size 0
		.amdhsa_kernarg_size 304
		.amdhsa_user_sgpr_count 13
		.amdhsa_user_sgpr_dispatch_ptr 0
		.amdhsa_user_sgpr_queue_ptr 0
		.amdhsa_user_sgpr_kernarg_segment_ptr 1
		.amdhsa_user_sgpr_dispatch_id 0
		.amdhsa_user_sgpr_private_segment_size 0
		.amdhsa_wavefront_size32 1
		.amdhsa_uses_dynamic_stack 0
		.amdhsa_enable_private_segment 0
		.amdhsa_system_sgpr_workgroup_id_x 1
		.amdhsa_system_sgpr_workgroup_id_y 1
		.amdhsa_system_sgpr_workgroup_id_z 1
		.amdhsa_system_sgpr_workgroup_info 0
		.amdhsa_system_vgpr_workitem_id 2
		.amdhsa_next_free_vgpr 14
		.amdhsa_next_free_sgpr 26
		.amdhsa_reserve_vcc 1
		.amdhsa_float_round_mode_32 0
		.amdhsa_float_round_mode_16_64 0
		.amdhsa_float_denorm_mode_32 3
		.amdhsa_float_denorm_mode_16_64 3
		.amdhsa_dx10_clamp 1
		.amdhsa_ieee_mode 1
		.amdhsa_fp16_overflow 0
		.amdhsa_workgroup_processor_mode 1
		.amdhsa_memory_ordered 1
		.amdhsa_forward_progress 0
		.amdhsa_shared_vgpr_count 0
		.amdhsa_exception_fp_ieee_invalid_op 0
		.amdhsa_exception_fp_denorm_src 0
		.amdhsa_exception_fp_ieee_div_zero 0
		.amdhsa_exception_fp_ieee_overflow 0
		.amdhsa_exception_fp_ieee_underflow 0
		.amdhsa_exception_fp_ieee_inexact 0
		.amdhsa_exception_int_div_zero 0
	.end_amdhsa_kernel
	.section	.text._ZL46kernel_cg_multi_grid_group_type_via_public_apiPiS_S_S_S_S_,"axG",@progbits,_ZL46kernel_cg_multi_grid_group_type_via_public_apiPiS_S_S_S_S_,comdat
.Lfunc_end2:
	.size	_ZL46kernel_cg_multi_grid_group_type_via_public_apiPiS_S_S_S_S_, .Lfunc_end2-_ZL46kernel_cg_multi_grid_group_type_via_public_apiPiS_S_S_S_S_
                                        ; -- End function
	.section	.AMDGPU.csdata,"",@progbits
; Kernel info:
; codeLenInByte = 2124
; NumSgprs: 28
; NumVgprs: 14
; ScratchSize: 0
; MemoryBound: 0
; FloatMode: 240
; IeeeMode: 1
; LDSByteSize: 0 bytes/workgroup (compile time only)
; SGPRBlocks: 3
; VGPRBlocks: 1
; NumSGPRsForWavesPerEU: 28
; NumVGPRsForWavesPerEU: 14
; Occupancy: 16
; WaveLimiterHint : 1
; COMPUTE_PGM_RSRC2:SCRATCH_EN: 0
; COMPUTE_PGM_RSRC2:USER_SGPR: 13
; COMPUTE_PGM_RSRC2:TRAP_HANDLER: 0
; COMPUTE_PGM_RSRC2:TGID_X_EN: 1
; COMPUTE_PGM_RSRC2:TGID_Y_EN: 1
; COMPUTE_PGM_RSRC2:TGID_Z_EN: 1
; COMPUTE_PGM_RSRC2:TIDIG_COMP_CNT: 2
	.text
	.protected	_Z11test_kernelPjS_jS_S_S_S_ ; -- Begin function _Z11test_kernelPjS_jS_S_S_S_
	.globl	_Z11test_kernelPjS_jS_S_S_S_
	.p2align	8
	.type	_Z11test_kernelPjS_jS_S_S_S_,@function
_Z11test_kernelPjS_jS_S_S_S_:           ; @_Z11test_kernelPjS_jS_S_S_S_
; %bb.0:
	s_load_b32 s12, s[0:1], 0x10
	s_mov_b32 s21, 0
	s_waitcnt lgkmcnt(0)
	s_cmp_eq_u32 s12, 0
	s_cbranch_scc1 .LBB3_83
; %bb.1:
	v_mov_b32_e32 v2, 0
	s_load_b64 s[2:3], s[0:1], 0x38
	s_add_u32 s4, s0, 56
	s_addc_u32 s6, s1, 0
	v_and_b32_e32 v3, 0x3ff, v0
	global_load_b32 v4, v2, s[0:1] offset:70
	s_clause 0x1
	s_load_b32 s16, s[0:1], 0x40
	s_load_b64 s[22:23], s[0:1], 0x90
	s_waitcnt lgkmcnt(0)
	s_mul_i32 s5, s3, s15
	s_delay_alu instid0(SALU_CYCLE_1) | instskip(NEXT) | instid1(SALU_CYCLE_1)
	s_add_i32 s5, s5, s14
	s_mul_i32 s5, s5, s2
	s_mul_i32 s3, s3, s16
	s_add_i32 s20, s5, s13
	s_cmp_lt_u32 s13, s2
	s_mul_i32 s26, s3, s2
	s_cselect_b32 s5, 12, 18
	s_delay_alu instid0(SALU_CYCLE_1)
	s_add_u32 s4, s4, s5
	s_addc_u32 s5, s6, 0
	s_add_i32 s27, s26, -1
	global_load_u16 v7, v2, s[4:5]
	s_load_b64 s[30:31], s[22:23], 0x8
	s_load_b256 s[4:11], s[0:1], 0x18
	s_waitcnt lgkmcnt(0)
	s_ashr_i32 s17, s30, 31
	s_mov_b32 s16, s30
	s_delay_alu instid0(SALU_CYCLE_1) | instskip(NEXT) | instid1(SALU_CYCLE_1)
	s_lshl_b64 s[16:17], s[16:17], 2
	s_add_u32 s24, s10, s16
	s_addc_u32 s25, s11, s17
	s_add_i32 s28, s30, 1
	s_add_u32 s6, s6, s16
	s_addc_u32 s7, s7, s17
	s_abs_i32 s29, s31
	s_load_b128 s[16:19], s[0:1], 0x0
	v_cvt_f32_u32_e32 v1, s29
	s_sub_i32 s33, 0, s29
	s_abs_i32 s1, s28
	s_delay_alu instid0(VALU_DEP_1) | instskip(SKIP_2) | instid1(VALU_DEP_1)
	v_rcp_iflag_f32_e32 v1, v1
	s_waitcnt_depctr 0xfff
	v_mul_f32_e32 v1, 0x4f7ffffe, v1
	v_cvt_u32_f32_e32 v1, v1
	s_delay_alu instid0(VALU_DEP_1) | instskip(SKIP_2) | instid1(VALU_DEP_3)
	v_readfirstlane_b32 s31, v1
	v_bfe_u32 v1, v0, 10, 10
	v_bfe_u32 v0, v0, 20, 10
	s_mul_i32 s33, s33, s31
	s_delay_alu instid0(VALU_DEP_2) | instskip(SKIP_1) | instid1(SALU_CYCLE_1)
	v_or_b32_e32 v9, v3, v1
	s_mul_hi_u32 s0, s31, s33
	s_add_i32 s31, s31, s0
	s_delay_alu instid0(SALU_CYCLE_1) | instskip(NEXT) | instid1(VALU_DEP_1)
	s_mul_hi_u32 s0, s1, s31
	v_or3_b32 v11, s15, s14, v9
	s_mul_i32 s0, s0, s29
	s_delay_alu instid0(SALU_CYCLE_1)
	s_sub_i32 s1, s1, s0
	v_cmp_eq_u32_e64 s0, 0, v3
	s_sub_i32 s31, s1, s29
	s_waitcnt vmcnt(1)
	v_lshrrev_b32_e32 v6, 16, v4
	v_and_b32_e32 v8, 0xffff, v4
	s_delay_alu instid0(VALU_DEP_2) | instskip(SKIP_3) | instid1(VALU_DEP_1)
	v_mul_lo_u32 v5, s3, v6
	s_ashr_i32 s3, s28, 31
	s_cmp_ge_u32 s1, s29
	s_cselect_b32 s1, s31, s1
	v_mul_lo_u32 v10, v5, v8
	v_mad_u64_u32 v[4:5], null, s20, v6, v[0:1]
	s_mov_b32 s20, s21
	s_delay_alu instid0(VALU_DEP_2) | instskip(NEXT) | instid1(VALU_DEP_2)
	v_mul_lo_u32 v10, v10, s2
	v_mad_u64_u32 v[5:6], null, v4, v8, v[1:2]
	v_or_b32_e32 v4, v9, v0
	s_sub_i32 s2, s1, s29
	s_cmp_ge_u32 s1, s29
	v_or3_b32 v8, v11, s13, v0
	s_cselect_b32 s1, s2, s1
	s_mul_i32 s29, s30, s12
	s_waitcnt vmcnt(0)
	v_mul_lo_u32 v6, v10, v7
	v_mad_u64_u32 v[0:1], null, v5, v7, v[3:4]
	v_mov_b32_e32 v3, -1
	s_xor_b32 s1, s1, s3
	s_mov_b32 s30, 0
	s_sub_i32 s2, s1, s3
	v_cmp_eq_u32_e64 s1, 0, v4
	s_delay_alu instid0(VALU_DEP_4) | instskip(SKIP_1) | instid1(SALU_CYCLE_1)
	v_add_nc_u32_e32 v1, -1, v6
	s_ashr_i32 s3, s2, 31
	s_lshl_b64 s[14:15], s[2:3], 2
	v_cmp_eq_u32_e64 s2, 0, v8
	s_delay_alu instid0(VALU_DEP_2)
	v_cmp_eq_u32_e64 s3, v0, v1
	s_add_u32 s10, s10, s14
	s_addc_u32 s11, s11, s15
	s_branch .LBB3_3
.LBB3_2:                                ;   in Loop: Header=BB3_3 Depth=1
	s_or_b32 exec_lo, exec_lo, s15
	s_add_i32 s20, s20, 1
	s_add_i32 s30, s30, s26
	s_cmp_eq_u32 s20, s12
	s_waitcnt_vscnt null, 0x0
	s_barrier
	s_cbranch_scc1 .LBB3_83
.LBB3_3:                                ; =>This Loop Header: Depth=1
                                        ;     Child Loop BB3_5 Depth 2
                                        ;     Child Loop BB3_14 Depth 2
	;; [unrolled: 1-line block ×8, first 2 shown]
	s_delay_alu instid0(VALU_DEP_1)
	s_and_saveexec_b32 s31, s3
	s_cbranch_execz .LBB3_7
; %bb.4:                                ;   in Loop: Header=BB3_3 Depth=1
	s_lshl_b64 s[14:15], s[20:21], 2
	s_delay_alu instid0(SALU_CYCLE_1)
	s_add_u32 s14, s4, s14
	s_addc_u32 s15, s5, s15
	global_load_b32 v0, v2, s[14:15] glc
	s_waitcnt vmcnt(0)
	v_cmp_le_u32_e32 vcc_lo, s27, v0
	s_cbranch_vccnz .LBB3_6
.LBB3_5:                                ;   Parent Loop BB3_3 Depth=1
                                        ; =>  This Inner Loop Header: Depth=2
	s_sleep 0x7f
	global_load_b32 v0, v2, s[14:15] glc
	s_waitcnt vmcnt(0)
	v_cmp_gt_u32_e32 vcc_lo, s27, v0
	s_cbranch_vccnz .LBB3_5
.LBB3_6:                                ;   in Loop: Header=BB3_3 Depth=1
	s_sleep 0x7f
.LBB3_7:                                ;   in Loop: Header=BB3_3 Depth=1
	s_or_b32 exec_lo, exec_lo, s31
	s_and_saveexec_b32 s14, s0
	s_cbranch_execz .LBB3_9
; %bb.8:                                ;   in Loop: Header=BB3_3 Depth=1
	s_add_i32 s34, s30, s13
	s_delay_alu instid0(SALU_CYCLE_1) | instskip(NEXT) | instid1(SALU_CYCLE_1)
	s_ashr_i32 s35, s34, 31
	s_lshl_b64 s[34:35], s[34:35], 2
	s_waitcnt lgkmcnt(0)
	s_add_u32 s34, s18, s34
	s_addc_u32 s35, s19, s35
	s_lshl_b64 s[36:37], s[20:21], 2
	s_delay_alu instid0(SALU_CYCLE_1)
	s_add_u32 s36, s4, s36
	s_addc_u32 s37, s5, s37
	s_clause 0x1
	global_atomic_inc_u32 v2, v3, s[36:37]
	global_atomic_inc_u32 v0, v2, v3, s[16:17] glc
	s_waitcnt vmcnt(0)
	global_store_b32 v2, v0, s[34:35]
.LBB3_9:                                ;   in Loop: Header=BB3_3 Depth=1
	s_or_b32 exec_lo, exec_lo, s14
	s_waitcnt lgkmcnt(0)
	s_waitcnt_vscnt null, 0x0
	buffer_gl1_inv
	buffer_gl0_inv
	s_barrier
	s_and_saveexec_b32 s14, s1
	s_cbranch_execz .LBB3_19
; %bb.10:                               ;   in Loop: Header=BB3_3 Depth=1
	global_load_b32 v0, v2, s[22:23] offset:40
	s_mov_b32 s31, exec_lo
	s_mov_b32 s15, exec_lo
	v_mbcnt_lo_u32_b32 v1, s31, 0
                                        ; implicit-def: $vgpr4
	s_delay_alu instid0(VALU_DEP_1)
	v_cmpx_eq_u32_e32 0, v1
	s_cbranch_execz .LBB3_12
; %bb.11:                               ;   in Loop: Header=BB3_3 Depth=1
	s_bcnt1_i32_b32 s31, s31
	s_delay_alu instid0(SALU_CYCLE_1)
	v_mov_b32_e32 v4, s31
	global_atomic_add_u32 v4, v2, v4, s[22:23] offset:32 glc
.LBB3_12:                               ;   in Loop: Header=BB3_3 Depth=1
	s_or_b32 exec_lo, exec_lo, s15
	s_waitcnt vmcnt(0)
	v_readfirstlane_b32 s15, v4
	v_add_nc_u32_e32 v5, -1, v0
	s_delay_alu instid0(VALU_DEP_2) | instskip(SKIP_1) | instid1(VALU_DEP_1)
	v_add_nc_u32_e32 v1, s15, v1
	s_mov_b32 s15, exec_lo
	v_and_b32_e32 v4, 0xffff, v1
	s_delay_alu instid0(VALU_DEP_1)
	v_cmpx_ne_u32_e64 v4, v5
	s_xor_b32 s15, exec_lo, s15
	s_cbranch_execz .LBB3_16
; %bb.13:                               ;   in Loop: Header=BB3_3 Depth=1
	s_mov_b32 s31, 0
.LBB3_14:                               ;   Parent Loop BB3_3 Depth=1
                                        ; =>  This Inner Loop Header: Depth=2
	s_sleep 1
	global_load_b32 v0, v2, s[22:23] offset:32 glc
	s_waitcnt vmcnt(0)
	v_xor_b32_e32 v0, v0, v1
	s_delay_alu instid0(VALU_DEP_1) | instskip(SKIP_1) | instid1(SALU_CYCLE_1)
	v_cmp_lt_u32_e32 vcc_lo, 0xffff, v0
	s_or_b32 s31, vcc_lo, s31
	s_and_not1_b32 exec_lo, exec_lo, s31
	s_cbranch_execnz .LBB3_14
; %bb.15:                               ;   in Loop: Header=BB3_3 Depth=1
	s_or_b32 exec_lo, exec_lo, s31
                                        ; implicit-def: $vgpr0
.LBB3_16:                               ;   in Loop: Header=BB3_3 Depth=1
	s_and_not1_saveexec_b32 s15, s15
	s_cbranch_execz .LBB3_19
; %bb.17:                               ;   in Loop: Header=BB3_3 Depth=1
	s_mov_b32 s15, exec_lo
	s_delay_alu instid0(SALU_CYCLE_1) | instskip(NEXT) | instid1(VALU_DEP_1)
	v_mbcnt_lo_u32_b32 v1, s15, 0
	v_cmp_eq_u32_e32 vcc_lo, 0, v1
	s_and_b32 s31, exec_lo, vcc_lo
	s_delay_alu instid0(SALU_CYCLE_1)
	s_mov_b32 exec_lo, s31
	s_cbranch_execz .LBB3_19
; %bb.18:                               ;   in Loop: Header=BB3_3 Depth=1
	v_sub_nc_u32_e32 v0, 0x10000, v0
	s_bcnt1_i32_b32 s15, s15
	s_delay_alu instid0(VALU_DEP_1) | instid1(SALU_CYCLE_1)
	v_mul_lo_u32 v0, v0, s15
	global_atomic_add_u32 v2, v0, s[22:23] offset:32
.LBB3_19:                               ;   in Loop: Header=BB3_3 Depth=1
	s_or_b32 exec_lo, exec_lo, s14
	s_waitcnt_vscnt null, 0x0
	s_barrier
	s_and_saveexec_b32 s14, s3
	s_cbranch_execz .LBB3_23
; %bb.20:                               ;   in Loop: Header=BB3_3 Depth=1
	s_mov_b32 s31, exec_lo
	s_mov_b32 s15, exec_lo
	v_mbcnt_lo_u32_b32 v0, s31, 0
                                        ; implicit-def: $vgpr1
	s_delay_alu instid0(VALU_DEP_1)
	v_cmpx_eq_u32_e32 0, v0
	s_cbranch_execz .LBB3_22
; %bb.21:                               ;   in Loop: Header=BB3_3 Depth=1
	s_bcnt1_i32_b32 s31, s31
	s_delay_alu instid0(SALU_CYCLE_1) | instskip(NEXT) | instid1(SALU_CYCLE_1)
	s_mul_i32 s31, s28, s31
	v_mov_b32_e32 v1, s31
	global_atomic_add_u32 v1, v2, v1, s[6:7] glc
.LBB3_22:                               ;   in Loop: Header=BB3_3 Depth=1
	s_or_b32 exec_lo, exec_lo, s15
	s_waitcnt vmcnt(0)
	v_readfirstlane_b32 s34, v1
	s_delay_alu instid0(VALU_DEP_1)
	v_mad_u64_u32 v[4:5], null, s28, v0, s[34:35]
	global_store_b32 v2, v4, s[24:25]
.LBB3_23:                               ;   in Loop: Header=BB3_3 Depth=1
	s_or_b32 exec_lo, exec_lo, s14
	s_waitcnt_vscnt null, 0x0
	buffer_gl1_inv
	buffer_gl0_inv
	s_barrier
	global_load_b32 v0, v2, s[22:23] offset:40
	s_waitcnt vmcnt(0)
	v_readfirstlane_b32 s14, v0
	s_and_saveexec_b32 s15, s1
	s_cbranch_execz .LBB3_33
; %bb.24:                               ;   in Loop: Header=BB3_3 Depth=1
	s_mov_b32 s33, exec_lo
	s_mov_b32 s31, exec_lo
	v_mbcnt_lo_u32_b32 v0, s33, 0
                                        ; implicit-def: $vgpr1
	s_delay_alu instid0(VALU_DEP_1)
	v_cmpx_eq_u32_e32 0, v0
	s_cbranch_execz .LBB3_26
; %bb.25:                               ;   in Loop: Header=BB3_3 Depth=1
	s_bcnt1_i32_b32 s33, s33
	s_delay_alu instid0(SALU_CYCLE_1)
	v_mov_b32_e32 v1, s33
	global_atomic_add_u32 v1, v2, v1, s[22:23] offset:32 glc
.LBB3_26:                               ;   in Loop: Header=BB3_3 Depth=1
	s_or_b32 exec_lo, exec_lo, s31
	s_waitcnt vmcnt(0)
	v_readfirstlane_b32 s31, v1
	s_delay_alu instid0(VALU_DEP_1) | instskip(SKIP_1) | instid1(VALU_DEP_1)
	v_add_nc_u32_e32 v0, s31, v0
	s_add_i32 s31, s14, -1
	v_and_b32_e32 v1, 0xffff, v0
	s_delay_alu instid0(VALU_DEP_1) | instskip(SKIP_1) | instid1(SALU_CYCLE_1)
	v_cmp_ne_u32_e32 vcc_lo, s31, v1
	s_and_saveexec_b32 s31, vcc_lo
	s_xor_b32 s31, exec_lo, s31
	s_cbranch_execz .LBB3_30
; %bb.27:                               ;   in Loop: Header=BB3_3 Depth=1
	s_mov_b32 s33, 0
.LBB3_28:                               ;   Parent Loop BB3_3 Depth=1
                                        ; =>  This Inner Loop Header: Depth=2
	s_sleep 1
	global_load_b32 v1, v2, s[22:23] offset:32 glc
	s_waitcnt vmcnt(0)
	v_xor_b32_e32 v1, v1, v0
	s_delay_alu instid0(VALU_DEP_1) | instskip(SKIP_1) | instid1(SALU_CYCLE_1)
	v_cmp_lt_u32_e32 vcc_lo, 0xffff, v1
	s_or_b32 s33, vcc_lo, s33
	s_and_not1_b32 exec_lo, exec_lo, s33
	s_cbranch_execnz .LBB3_28
; %bb.29:                               ;   in Loop: Header=BB3_3 Depth=1
	s_or_b32 exec_lo, exec_lo, s33
.LBB3_30:                               ;   in Loop: Header=BB3_3 Depth=1
	s_and_not1_saveexec_b32 s31, s31
	s_cbranch_execz .LBB3_33
; %bb.31:                               ;   in Loop: Header=BB3_3 Depth=1
	s_mov_b32 s31, exec_lo
	s_delay_alu instid0(SALU_CYCLE_1) | instskip(NEXT) | instid1(VALU_DEP_1)
	v_mbcnt_lo_u32_b32 v0, s31, 0
	v_cmp_eq_u32_e32 vcc_lo, 0, v0
	s_and_b32 s33, exec_lo, vcc_lo
	s_delay_alu instid0(SALU_CYCLE_1)
	s_mov_b32 exec_lo, s33
	s_cbranch_execz .LBB3_33
; %bb.32:                               ;   in Loop: Header=BB3_3 Depth=1
	s_sub_i32 s33, 0x10000, s14
	s_bcnt1_i32_b32 s31, s31
	s_delay_alu instid0(SALU_CYCLE_1) | instskip(NEXT) | instid1(SALU_CYCLE_1)
	s_mul_i32 s31, s33, s31
	v_mov_b32_e32 v0, s31
	global_atomic_add_u32 v2, v0, s[22:23] offset:32
.LBB3_33:                               ;   in Loop: Header=BB3_3 Depth=1
	s_or_b32 exec_lo, exec_lo, s15
	s_and_saveexec_b32 s15, s2
	s_cbranch_execz .LBB3_43
; %bb.34:                               ;   in Loop: Header=BB3_3 Depth=1
	s_clause 0x1
	global_load_b64 v[0:1], v2, s[22:23]
	global_load_b32 v4, v2, s[22:23] offset:12
	s_mov_b32 s31, exec_lo
	s_mov_b32 s33, exec_lo
	v_mbcnt_lo_u32_b32 v5, s31, 0
                                        ; implicit-def: $vgpr6
	s_delay_alu instid0(VALU_DEP_1)
	v_cmpx_eq_u32_e32 0, v5
	s_cbranch_execz .LBB3_36
; %bb.35:                               ;   in Loop: Header=BB3_3 Depth=1
	s_bcnt1_i32_b32 s31, s31
	s_delay_alu instid0(SALU_CYCLE_1)
	v_mov_b32_e32 v6, s31
	s_waitcnt vmcnt(1)
	global_atomic_add_u32 v6, v[0:1], v6, off glc
.LBB3_36:                               ;   in Loop: Header=BB3_3 Depth=1
	s_or_b32 exec_lo, exec_lo, s33
	s_waitcnt vmcnt(0)
	v_readfirstlane_b32 s31, v6
	v_add_nc_u32_e32 v7, -1, v4
	s_delay_alu instid0(VALU_DEP_2) | instskip(SKIP_1) | instid1(VALU_DEP_1)
	v_add_nc_u32_e32 v5, s31, v5
	s_mov_b32 s31, exec_lo
	v_and_b32_e32 v6, 0xff, v5
	s_delay_alu instid0(VALU_DEP_1)
	v_cmpx_ne_u32_e64 v6, v7
	s_xor_b32 s31, exec_lo, s31
	s_cbranch_execz .LBB3_40
; %bb.37:                               ;   in Loop: Header=BB3_3 Depth=1
	s_mov_b32 s33, 0
.LBB3_38:                               ;   Parent Loop BB3_3 Depth=1
                                        ; =>  This Inner Loop Header: Depth=2
	s_sleep 2
	global_load_b32 v4, v[0:1], off glc
	s_waitcnt vmcnt(0)
	v_xor_b32_e32 v4, v4, v5
	s_delay_alu instid0(VALU_DEP_1) | instskip(SKIP_1) | instid1(SALU_CYCLE_1)
	v_cmp_lt_u32_e32 vcc_lo, 0xff, v4
	s_or_b32 s33, vcc_lo, s33
	s_and_not1_b32 exec_lo, exec_lo, s33
	s_cbranch_execnz .LBB3_38
; %bb.39:                               ;   in Loop: Header=BB3_3 Depth=1
	s_or_b32 exec_lo, exec_lo, s33
                                        ; implicit-def: $vgpr4
                                        ; implicit-def: $vgpr0_vgpr1
.LBB3_40:                               ;   in Loop: Header=BB3_3 Depth=1
	s_and_not1_saveexec_b32 s31, s31
	s_cbranch_execz .LBB3_43
; %bb.41:                               ;   in Loop: Header=BB3_3 Depth=1
	s_mov_b32 s31, exec_lo
	s_delay_alu instid0(SALU_CYCLE_1) | instskip(NEXT) | instid1(VALU_DEP_1)
	v_mbcnt_lo_u32_b32 v5, s31, 0
	v_cmp_eq_u32_e32 vcc_lo, 0, v5
	s_and_b32 s33, exec_lo, vcc_lo
	s_delay_alu instid0(SALU_CYCLE_1)
	s_mov_b32 exec_lo, s33
	s_cbranch_execz .LBB3_43
; %bb.42:                               ;   in Loop: Header=BB3_3 Depth=1
	v_sub_nc_u32_e32 v4, 0x100, v4
	s_bcnt1_i32_b32 s31, s31
	s_delay_alu instid0(VALU_DEP_1) | instid1(SALU_CYCLE_1)
	v_mul_lo_u32 v4, v4, s31
	global_atomic_add_u32 v[0:1], v4, off
.LBB3_43:                               ;   in Loop: Header=BB3_3 Depth=1
	s_or_b32 exec_lo, exec_lo, s15
	s_and_saveexec_b32 s15, s1
	s_cbranch_execz .LBB3_53
; %bb.44:                               ;   in Loop: Header=BB3_3 Depth=1
	s_mov_b32 s33, exec_lo
	s_mov_b32 s31, exec_lo
	v_mbcnt_lo_u32_b32 v0, s33, 0
                                        ; implicit-def: $vgpr1
	s_delay_alu instid0(VALU_DEP_1)
	v_cmpx_eq_u32_e32 0, v0
	s_cbranch_execz .LBB3_46
; %bb.45:                               ;   in Loop: Header=BB3_3 Depth=1
	s_bcnt1_i32_b32 s33, s33
	s_delay_alu instid0(SALU_CYCLE_1)
	v_mov_b32_e32 v1, s33
	global_atomic_add_u32 v1, v2, v1, s[22:23] offset:32 glc
.LBB3_46:                               ;   in Loop: Header=BB3_3 Depth=1
	s_or_b32 exec_lo, exec_lo, s31
	s_waitcnt vmcnt(0)
	v_readfirstlane_b32 s31, v1
	s_delay_alu instid0(VALU_DEP_1) | instskip(SKIP_1) | instid1(VALU_DEP_1)
	v_add_nc_u32_e32 v0, s31, v0
	s_add_i32 s31, s14, -1
	v_and_b32_e32 v1, 0xffff, v0
	s_delay_alu instid0(VALU_DEP_1) | instskip(SKIP_1) | instid1(SALU_CYCLE_1)
	v_cmp_ne_u32_e32 vcc_lo, s31, v1
	s_and_saveexec_b32 s31, vcc_lo
	s_xor_b32 s31, exec_lo, s31
	s_cbranch_execz .LBB3_50
; %bb.47:                               ;   in Loop: Header=BB3_3 Depth=1
	s_mov_b32 s33, 0
.LBB3_48:                               ;   Parent Loop BB3_3 Depth=1
                                        ; =>  This Inner Loop Header: Depth=2
	s_sleep 1
	global_load_b32 v1, v2, s[22:23] offset:32 glc
	s_waitcnt vmcnt(0)
	v_xor_b32_e32 v1, v1, v0
	s_delay_alu instid0(VALU_DEP_1) | instskip(SKIP_1) | instid1(SALU_CYCLE_1)
	v_cmp_lt_u32_e32 vcc_lo, 0xffff, v1
	s_or_b32 s33, vcc_lo, s33
	s_and_not1_b32 exec_lo, exec_lo, s33
	s_cbranch_execnz .LBB3_48
; %bb.49:                               ;   in Loop: Header=BB3_3 Depth=1
	s_or_b32 exec_lo, exec_lo, s33
.LBB3_50:                               ;   in Loop: Header=BB3_3 Depth=1
	s_and_not1_saveexec_b32 s31, s31
	s_cbranch_execz .LBB3_53
; %bb.51:                               ;   in Loop: Header=BB3_3 Depth=1
	s_mov_b32 s31, exec_lo
	s_delay_alu instid0(SALU_CYCLE_1) | instskip(NEXT) | instid1(VALU_DEP_1)
	v_mbcnt_lo_u32_b32 v0, s31, 0
	v_cmp_eq_u32_e32 vcc_lo, 0, v0
	s_and_b32 s33, exec_lo, vcc_lo
	s_delay_alu instid0(SALU_CYCLE_1)
	s_mov_b32 exec_lo, s33
	s_cbranch_execz .LBB3_53
; %bb.52:                               ;   in Loop: Header=BB3_3 Depth=1
	s_sub_i32 s14, 0x10000, s14
	s_bcnt1_i32_b32 s31, s31
	s_delay_alu instid0(SALU_CYCLE_1) | instskip(NEXT) | instid1(SALU_CYCLE_1)
	s_mul_i32 s14, s14, s31
	v_mov_b32_e32 v0, s14
	global_atomic_add_u32 v2, v0, s[22:23] offset:32
.LBB3_53:                               ;   in Loop: Header=BB3_3 Depth=1
	s_or_b32 exec_lo, exec_lo, s15
	s_waitcnt_vscnt null, 0x0
	s_barrier
	global_load_b32 v0, v2, s[10:11]
	s_add_i32 s14, s20, s29
	s_mov_b32 s15, s21
	s_delay_alu instid0(SALU_CYCLE_1) | instskip(NEXT) | instid1(SALU_CYCLE_1)
	s_lshl_b64 s[14:15], s[14:15], 2
	s_add_u32 s14, s8, s14
	s_addc_u32 s15, s9, s15
	s_waitcnt vmcnt(0)
	global_store_b32 v2, v0, s[14:15]
	s_waitcnt_vscnt null, 0x0
	buffer_gl1_inv
	buffer_gl0_inv
	s_barrier
	global_load_b32 v0, v2, s[22:23] offset:40
	s_waitcnt vmcnt(0)
	v_readfirstlane_b32 s14, v0
	s_and_saveexec_b32 s15, s1
	s_cbranch_execz .LBB3_63
; %bb.54:                               ;   in Loop: Header=BB3_3 Depth=1
	s_mov_b32 s33, exec_lo
	s_mov_b32 s31, exec_lo
	v_mbcnt_lo_u32_b32 v0, s33, 0
                                        ; implicit-def: $vgpr1
	s_delay_alu instid0(VALU_DEP_1)
	v_cmpx_eq_u32_e32 0, v0
	s_cbranch_execz .LBB3_56
; %bb.55:                               ;   in Loop: Header=BB3_3 Depth=1
	s_bcnt1_i32_b32 s33, s33
	s_delay_alu instid0(SALU_CYCLE_1)
	v_mov_b32_e32 v1, s33
	global_atomic_add_u32 v1, v2, v1, s[22:23] offset:32 glc
.LBB3_56:                               ;   in Loop: Header=BB3_3 Depth=1
	s_or_b32 exec_lo, exec_lo, s31
	s_waitcnt vmcnt(0)
	v_readfirstlane_b32 s31, v1
	s_delay_alu instid0(VALU_DEP_1) | instskip(SKIP_1) | instid1(VALU_DEP_1)
	v_add_nc_u32_e32 v0, s31, v0
	s_add_i32 s31, s14, -1
	v_and_b32_e32 v1, 0xffff, v0
	s_delay_alu instid0(VALU_DEP_1) | instskip(SKIP_1) | instid1(SALU_CYCLE_1)
	v_cmp_ne_u32_e32 vcc_lo, s31, v1
	s_and_saveexec_b32 s31, vcc_lo
	s_xor_b32 s31, exec_lo, s31
	s_cbranch_execz .LBB3_60
; %bb.57:                               ;   in Loop: Header=BB3_3 Depth=1
	s_mov_b32 s33, 0
.LBB3_58:                               ;   Parent Loop BB3_3 Depth=1
                                        ; =>  This Inner Loop Header: Depth=2
	s_sleep 1
	global_load_b32 v1, v2, s[22:23] offset:32 glc
	s_waitcnt vmcnt(0)
	v_xor_b32_e32 v1, v1, v0
	s_delay_alu instid0(VALU_DEP_1) | instskip(SKIP_1) | instid1(SALU_CYCLE_1)
	v_cmp_lt_u32_e32 vcc_lo, 0xffff, v1
	s_or_b32 s33, vcc_lo, s33
	s_and_not1_b32 exec_lo, exec_lo, s33
	s_cbranch_execnz .LBB3_58
; %bb.59:                               ;   in Loop: Header=BB3_3 Depth=1
	s_or_b32 exec_lo, exec_lo, s33
.LBB3_60:                               ;   in Loop: Header=BB3_3 Depth=1
	s_and_not1_saveexec_b32 s31, s31
	s_cbranch_execz .LBB3_63
; %bb.61:                               ;   in Loop: Header=BB3_3 Depth=1
	s_mov_b32 s31, exec_lo
	s_delay_alu instid0(SALU_CYCLE_1) | instskip(NEXT) | instid1(VALU_DEP_1)
	v_mbcnt_lo_u32_b32 v0, s31, 0
	v_cmp_eq_u32_e32 vcc_lo, 0, v0
	s_and_b32 s33, exec_lo, vcc_lo
	s_delay_alu instid0(SALU_CYCLE_1)
	s_mov_b32 exec_lo, s33
	s_cbranch_execz .LBB3_63
; %bb.62:                               ;   in Loop: Header=BB3_3 Depth=1
	s_sub_i32 s33, 0x10000, s14
	s_bcnt1_i32_b32 s31, s31
	s_delay_alu instid0(SALU_CYCLE_1) | instskip(NEXT) | instid1(SALU_CYCLE_1)
	s_mul_i32 s31, s33, s31
	v_mov_b32_e32 v0, s31
	global_atomic_add_u32 v2, v0, s[22:23] offset:32
.LBB3_63:                               ;   in Loop: Header=BB3_3 Depth=1
	s_or_b32 exec_lo, exec_lo, s15
	s_and_saveexec_b32 s15, s2
	s_cbranch_execz .LBB3_73
; %bb.64:                               ;   in Loop: Header=BB3_3 Depth=1
	s_clause 0x1
	global_load_b64 v[0:1], v2, s[22:23]
	global_load_b32 v4, v2, s[22:23] offset:12
	s_mov_b32 s31, exec_lo
	s_mov_b32 s33, exec_lo
	v_mbcnt_lo_u32_b32 v5, s31, 0
                                        ; implicit-def: $vgpr6
	s_delay_alu instid0(VALU_DEP_1)
	v_cmpx_eq_u32_e32 0, v5
	s_cbranch_execz .LBB3_66
; %bb.65:                               ;   in Loop: Header=BB3_3 Depth=1
	s_bcnt1_i32_b32 s31, s31
	s_delay_alu instid0(SALU_CYCLE_1)
	v_mov_b32_e32 v6, s31
	s_waitcnt vmcnt(1)
	global_atomic_add_u32 v6, v[0:1], v6, off glc
.LBB3_66:                               ;   in Loop: Header=BB3_3 Depth=1
	s_or_b32 exec_lo, exec_lo, s33
	s_waitcnt vmcnt(0)
	v_readfirstlane_b32 s31, v6
	v_add_nc_u32_e32 v7, -1, v4
	s_delay_alu instid0(VALU_DEP_2) | instskip(SKIP_1) | instid1(VALU_DEP_1)
	v_add_nc_u32_e32 v5, s31, v5
	s_mov_b32 s31, exec_lo
	v_and_b32_e32 v6, 0xff, v5
	s_delay_alu instid0(VALU_DEP_1)
	v_cmpx_ne_u32_e64 v6, v7
	s_xor_b32 s31, exec_lo, s31
	s_cbranch_execz .LBB3_70
; %bb.67:                               ;   in Loop: Header=BB3_3 Depth=1
	s_mov_b32 s33, 0
.LBB3_68:                               ;   Parent Loop BB3_3 Depth=1
                                        ; =>  This Inner Loop Header: Depth=2
	s_sleep 2
	global_load_b32 v4, v[0:1], off glc
	s_waitcnt vmcnt(0)
	v_xor_b32_e32 v4, v4, v5
	s_delay_alu instid0(VALU_DEP_1) | instskip(SKIP_1) | instid1(SALU_CYCLE_1)
	v_cmp_lt_u32_e32 vcc_lo, 0xff, v4
	s_or_b32 s33, vcc_lo, s33
	s_and_not1_b32 exec_lo, exec_lo, s33
	s_cbranch_execnz .LBB3_68
; %bb.69:                               ;   in Loop: Header=BB3_3 Depth=1
	s_or_b32 exec_lo, exec_lo, s33
                                        ; implicit-def: $vgpr4
                                        ; implicit-def: $vgpr0_vgpr1
.LBB3_70:                               ;   in Loop: Header=BB3_3 Depth=1
	s_and_not1_saveexec_b32 s31, s31
	s_cbranch_execz .LBB3_73
; %bb.71:                               ;   in Loop: Header=BB3_3 Depth=1
	s_mov_b32 s31, exec_lo
	s_delay_alu instid0(SALU_CYCLE_1) | instskip(NEXT) | instid1(VALU_DEP_1)
	v_mbcnt_lo_u32_b32 v5, s31, 0
	v_cmp_eq_u32_e32 vcc_lo, 0, v5
	s_and_b32 s33, exec_lo, vcc_lo
	s_delay_alu instid0(SALU_CYCLE_1)
	s_mov_b32 exec_lo, s33
	s_cbranch_execz .LBB3_73
; %bb.72:                               ;   in Loop: Header=BB3_3 Depth=1
	v_sub_nc_u32_e32 v4, 0x100, v4
	s_bcnt1_i32_b32 s31, s31
	s_delay_alu instid0(VALU_DEP_1) | instid1(SALU_CYCLE_1)
	v_mul_lo_u32 v4, v4, s31
	global_atomic_add_u32 v[0:1], v4, off
.LBB3_73:                               ;   in Loop: Header=BB3_3 Depth=1
	s_or_b32 exec_lo, exec_lo, s15
	s_and_saveexec_b32 s15, s1
	s_cbranch_execz .LBB3_2
; %bb.74:                               ;   in Loop: Header=BB3_3 Depth=1
	s_mov_b32 s33, exec_lo
	s_mov_b32 s31, exec_lo
	v_mbcnt_lo_u32_b32 v0, s33, 0
                                        ; implicit-def: $vgpr1
	s_delay_alu instid0(VALU_DEP_1)
	v_cmpx_eq_u32_e32 0, v0
	s_cbranch_execz .LBB3_76
; %bb.75:                               ;   in Loop: Header=BB3_3 Depth=1
	s_bcnt1_i32_b32 s33, s33
	s_delay_alu instid0(SALU_CYCLE_1)
	v_mov_b32_e32 v1, s33
	global_atomic_add_u32 v1, v2, v1, s[22:23] offset:32 glc
.LBB3_76:                               ;   in Loop: Header=BB3_3 Depth=1
	s_or_b32 exec_lo, exec_lo, s31
	s_waitcnt vmcnt(0)
	v_readfirstlane_b32 s31, v1
	s_delay_alu instid0(VALU_DEP_1) | instskip(SKIP_1) | instid1(VALU_DEP_1)
	v_add_nc_u32_e32 v0, s31, v0
	s_add_i32 s31, s14, -1
	v_and_b32_e32 v1, 0xffff, v0
	s_delay_alu instid0(VALU_DEP_1) | instskip(SKIP_1) | instid1(SALU_CYCLE_1)
	v_cmp_ne_u32_e32 vcc_lo, s31, v1
	s_and_saveexec_b32 s31, vcc_lo
	s_xor_b32 s31, exec_lo, s31
	s_cbranch_execz .LBB3_80
; %bb.77:                               ;   in Loop: Header=BB3_3 Depth=1
	s_mov_b32 s33, 0
.LBB3_78:                               ;   Parent Loop BB3_3 Depth=1
                                        ; =>  This Inner Loop Header: Depth=2
	s_sleep 1
	global_load_b32 v1, v2, s[22:23] offset:32 glc
	s_waitcnt vmcnt(0)
	v_xor_b32_e32 v1, v1, v0
	s_delay_alu instid0(VALU_DEP_1) | instskip(SKIP_1) | instid1(SALU_CYCLE_1)
	v_cmp_lt_u32_e32 vcc_lo, 0xffff, v1
	s_or_b32 s33, vcc_lo, s33
	s_and_not1_b32 exec_lo, exec_lo, s33
	s_cbranch_execnz .LBB3_78
; %bb.79:                               ;   in Loop: Header=BB3_3 Depth=1
	s_or_b32 exec_lo, exec_lo, s33
.LBB3_80:                               ;   in Loop: Header=BB3_3 Depth=1
	s_and_not1_saveexec_b32 s31, s31
	s_cbranch_execz .LBB3_2
; %bb.81:                               ;   in Loop: Header=BB3_3 Depth=1
	s_mov_b32 s31, exec_lo
	s_delay_alu instid0(SALU_CYCLE_1) | instskip(NEXT) | instid1(VALU_DEP_1)
	v_mbcnt_lo_u32_b32 v0, s31, 0
	v_cmp_eq_u32_e32 vcc_lo, 0, v0
	s_and_b32 s33, exec_lo, vcc_lo
	s_delay_alu instid0(SALU_CYCLE_1)
	s_mov_b32 exec_lo, s33
	s_cbranch_execz .LBB3_2
; %bb.82:                               ;   in Loop: Header=BB3_3 Depth=1
	s_sub_i32 s14, 0x10000, s14
	s_bcnt1_i32_b32 s31, s31
	s_delay_alu instid0(SALU_CYCLE_1) | instskip(NEXT) | instid1(SALU_CYCLE_1)
	s_mul_i32 s14, s14, s31
	v_mov_b32_e32 v0, s14
	global_atomic_add_u32 v2, v0, s[22:23] offset:32
	s_branch .LBB3_2
.LBB3_83:
	s_endpgm
	.section	.rodata,"a",@progbits
	.p2align	6, 0x0
	.amdhsa_kernel _Z11test_kernelPjS_jS_S_S_S_
		.amdhsa_group_segment_fixed_size 0
		.amdhsa_private_segment_fixed_size 0
		.amdhsa_kernarg_size 312
		.amdhsa_user_sgpr_count 13
		.amdhsa_user_sgpr_dispatch_ptr 0
		.amdhsa_user_sgpr_queue_ptr 0
		.amdhsa_user_sgpr_kernarg_segment_ptr 1
		.amdhsa_user_sgpr_dispatch_id 0
		.amdhsa_user_sgpr_private_segment_size 0
		.amdhsa_wavefront_size32 1
		.amdhsa_uses_dynamic_stack 0
		.amdhsa_enable_private_segment 0
		.amdhsa_system_sgpr_workgroup_id_x 1
		.amdhsa_system_sgpr_workgroup_id_y 1
		.amdhsa_system_sgpr_workgroup_id_z 1
		.amdhsa_system_sgpr_workgroup_info 0
		.amdhsa_system_vgpr_workitem_id 2
		.amdhsa_next_free_vgpr 12
		.amdhsa_next_free_sgpr 38
		.amdhsa_reserve_vcc 1
		.amdhsa_float_round_mode_32 0
		.amdhsa_float_round_mode_16_64 0
		.amdhsa_float_denorm_mode_32 3
		.amdhsa_float_denorm_mode_16_64 3
		.amdhsa_dx10_clamp 1
		.amdhsa_ieee_mode 1
		.amdhsa_fp16_overflow 0
		.amdhsa_workgroup_processor_mode 1
		.amdhsa_memory_ordered 1
		.amdhsa_forward_progress 0
		.amdhsa_shared_vgpr_count 0
		.amdhsa_exception_fp_ieee_invalid_op 0
		.amdhsa_exception_fp_denorm_src 0
		.amdhsa_exception_fp_ieee_div_zero 0
		.amdhsa_exception_fp_ieee_overflow 0
		.amdhsa_exception_fp_ieee_underflow 0
		.amdhsa_exception_fp_ieee_inexact 0
		.amdhsa_exception_int_div_zero 0
	.end_amdhsa_kernel
	.text
.Lfunc_end3:
	.size	_Z11test_kernelPjS_jS_S_S_S_, .Lfunc_end3-_Z11test_kernelPjS_jS_S_S_S_
                                        ; -- End function
	.section	.AMDGPU.csdata,"",@progbits
; Kernel info:
; codeLenInByte = 2744
; NumSgprs: 40
; NumVgprs: 12
; ScratchSize: 0
; MemoryBound: 0
; FloatMode: 240
; IeeeMode: 1
; LDSByteSize: 0 bytes/workgroup (compile time only)
; SGPRBlocks: 4
; VGPRBlocks: 1
; NumSGPRsForWavesPerEU: 40
; NumVGPRsForWavesPerEU: 12
; Occupancy: 16
; WaveLimiterHint : 1
; COMPUTE_PGM_RSRC2:SCRATCH_EN: 0
; COMPUTE_PGM_RSRC2:USER_SGPR: 13
; COMPUTE_PGM_RSRC2:TRAP_HANDLER: 0
; COMPUTE_PGM_RSRC2:TGID_X_EN: 1
; COMPUTE_PGM_RSRC2:TGID_Y_EN: 1
; COMPUTE_PGM_RSRC2:TGID_Z_EN: 1
; COMPUTE_PGM_RSRC2:TIDIG_COMP_CNT: 2
	.text
	.p2alignl 7, 3214868480
	.fill 96, 4, 3214868480
	.type	__hip_cuid_eae6f737167016da,@object ; @__hip_cuid_eae6f737167016da
	.section	.bss,"aw",@nobits
	.globl	__hip_cuid_eae6f737167016da
__hip_cuid_eae6f737167016da:
	.byte	0                               ; 0x0
	.size	__hip_cuid_eae6f737167016da, 1

	.ident	"AMD clang version 19.0.0git (https://github.com/RadeonOpenCompute/llvm-project roc-6.4.0 25133 c7fe45cf4b819c5991fe208aaa96edf142730f1d)"
	.section	".note.GNU-stack","",@progbits
	.addrsig
	.addrsig_sym __hip_cuid_eae6f737167016da
	.amdgpu_metadata
---
amdhsa.kernels:
  - .args:
      - .address_space:  global
        .offset:         0
        .size:           8
        .value_kind:     global_buffer
      - .address_space:  global
        .offset:         8
        .size:           8
        .value_kind:     global_buffer
      - .address_space:  global
        .offset:         16
        .size:           8
        .value_kind:     global_buffer
      - .address_space:  global
        .offset:         24
        .size:           8
        .value_kind:     global_buffer
      - .address_space:  global
        .offset:         32
        .size:           8
        .value_kind:     global_buffer
      - .address_space:  global
        .offset:         40
        .size:           8
        .value_kind:     global_buffer
      - .address_space:  global
        .offset:         48
        .size:           8
        .value_kind:     global_buffer
      - .offset:         56
        .size:           4
        .value_kind:     hidden_block_count_x
      - .offset:         60
        .size:           4
        .value_kind:     hidden_block_count_y
      - .offset:         64
        .size:           4
        .value_kind:     hidden_block_count_z
      - .offset:         68
        .size:           2
        .value_kind:     hidden_group_size_x
      - .offset:         70
        .size:           2
        .value_kind:     hidden_group_size_y
      - .offset:         72
        .size:           2
        .value_kind:     hidden_group_size_z
      - .offset:         74
        .size:           2
        .value_kind:     hidden_remainder_x
      - .offset:         76
        .size:           2
        .value_kind:     hidden_remainder_y
      - .offset:         78
        .size:           2
        .value_kind:     hidden_remainder_z
      - .offset:         96
        .size:           8
        .value_kind:     hidden_global_offset_x
      - .offset:         104
        .size:           8
        .value_kind:     hidden_global_offset_y
      - .offset:         112
        .size:           8
        .value_kind:     hidden_global_offset_z
      - .offset:         120
        .size:           2
        .value_kind:     hidden_grid_dims
      - .offset:         144
        .size:           8
        .value_kind:     hidden_multigrid_sync_arg
    .group_segment_fixed_size: 0
    .kernarg_segment_align: 8
    .kernarg_segment_size: 312
    .language:       OpenCL C
    .language_version:
      - 2
      - 0
    .max_flat_workgroup_size: 1024
    .name:           _ZL31kernel_cg_multi_grid_group_typePiS_S_S_S_S_S_
    .private_segment_fixed_size: 0
    .sgpr_count:     32
    .sgpr_spill_count: 0
    .symbol:         _ZL31kernel_cg_multi_grid_group_typePiS_S_S_S_S_S_.kd
    .uniform_work_group_size: 1
    .uses_dynamic_stack: false
    .vgpr_count:     14
    .vgpr_spill_count: 0
    .wavefront_size: 32
    .workgroup_processor_mode: 1
  - .args:
      - .address_space:  global
        .offset:         0
        .size:           8
        .value_kind:     global_buffer
      - .address_space:  global
        .offset:         8
        .size:           8
        .value_kind:     global_buffer
      - .address_space:  global
        .offset:         16
        .size:           8
        .value_kind:     global_buffer
      - .address_space:  global
        .offset:         24
        .size:           8
        .value_kind:     global_buffer
      - .address_space:  global
        .offset:         32
        .size:           8
        .value_kind:     global_buffer
      - .address_space:  global
        .offset:         40
        .size:           8
        .value_kind:     global_buffer
      - .offset:         48
        .size:           4
        .value_kind:     hidden_block_count_x
      - .offset:         52
        .size:           4
        .value_kind:     hidden_block_count_y
      - .offset:         56
        .size:           4
        .value_kind:     hidden_block_count_z
      - .offset:         60
        .size:           2
        .value_kind:     hidden_group_size_x
      - .offset:         62
        .size:           2
        .value_kind:     hidden_group_size_y
      - .offset:         64
        .size:           2
        .value_kind:     hidden_group_size_z
      - .offset:         66
        .size:           2
        .value_kind:     hidden_remainder_x
      - .offset:         68
        .size:           2
        .value_kind:     hidden_remainder_y
      - .offset:         70
        .size:           2
        .value_kind:     hidden_remainder_z
      - .offset:         88
        .size:           8
        .value_kind:     hidden_global_offset_x
      - .offset:         96
        .size:           8
        .value_kind:     hidden_global_offset_y
      - .offset:         104
        .size:           8
        .value_kind:     hidden_global_offset_z
      - .offset:         112
        .size:           2
        .value_kind:     hidden_grid_dims
      - .offset:         136
        .size:           8
        .value_kind:     hidden_multigrid_sync_arg
    .group_segment_fixed_size: 0
    .kernarg_segment_align: 8
    .kernarg_segment_size: 304
    .language:       OpenCL C
    .language_version:
      - 2
      - 0
    .max_flat_workgroup_size: 1024
    .name:           _ZL45kernel_cg_multi_grid_group_type_via_base_typePiS_S_S_S_S_
    .private_segment_fixed_size: 0
    .sgpr_count:     28
    .sgpr_spill_count: 0
    .symbol:         _ZL45kernel_cg_multi_grid_group_type_via_base_typePiS_S_S_S_S_.kd
    .uniform_work_group_size: 1
    .uses_dynamic_stack: false
    .vgpr_count:     14
    .vgpr_spill_count: 0
    .wavefront_size: 32
    .workgroup_processor_mode: 1
  - .args:
      - .address_space:  global
        .offset:         0
        .size:           8
        .value_kind:     global_buffer
      - .address_space:  global
        .offset:         8
        .size:           8
        .value_kind:     global_buffer
      - .address_space:  global
        .offset:         16
        .size:           8
        .value_kind:     global_buffer
      - .address_space:  global
        .offset:         24
        .size:           8
        .value_kind:     global_buffer
      - .address_space:  global
        .offset:         32
        .size:           8
        .value_kind:     global_buffer
      - .address_space:  global
        .offset:         40
        .size:           8
        .value_kind:     global_buffer
      - .offset:         48
        .size:           4
        .value_kind:     hidden_block_count_x
      - .offset:         52
        .size:           4
        .value_kind:     hidden_block_count_y
      - .offset:         56
        .size:           4
        .value_kind:     hidden_block_count_z
      - .offset:         60
        .size:           2
        .value_kind:     hidden_group_size_x
      - .offset:         62
        .size:           2
        .value_kind:     hidden_group_size_y
      - .offset:         64
        .size:           2
        .value_kind:     hidden_group_size_z
      - .offset:         66
        .size:           2
        .value_kind:     hidden_remainder_x
      - .offset:         68
        .size:           2
        .value_kind:     hidden_remainder_y
      - .offset:         70
        .size:           2
        .value_kind:     hidden_remainder_z
      - .offset:         88
        .size:           8
        .value_kind:     hidden_global_offset_x
      - .offset:         96
        .size:           8
        .value_kind:     hidden_global_offset_y
      - .offset:         104
        .size:           8
        .value_kind:     hidden_global_offset_z
      - .offset:         112
        .size:           2
        .value_kind:     hidden_grid_dims
      - .offset:         136
        .size:           8
        .value_kind:     hidden_multigrid_sync_arg
    .group_segment_fixed_size: 0
    .kernarg_segment_align: 8
    .kernarg_segment_size: 304
    .language:       OpenCL C
    .language_version:
      - 2
      - 0
    .max_flat_workgroup_size: 1024
    .name:           _ZL46kernel_cg_multi_grid_group_type_via_public_apiPiS_S_S_S_S_
    .private_segment_fixed_size: 0
    .sgpr_count:     28
    .sgpr_spill_count: 0
    .symbol:         _ZL46kernel_cg_multi_grid_group_type_via_public_apiPiS_S_S_S_S_.kd
    .uniform_work_group_size: 1
    .uses_dynamic_stack: false
    .vgpr_count:     14
    .vgpr_spill_count: 0
    .wavefront_size: 32
    .workgroup_processor_mode: 1
  - .args:
      - .address_space:  global
        .offset:         0
        .size:           8
        .value_kind:     global_buffer
      - .address_space:  global
        .offset:         8
        .size:           8
        .value_kind:     global_buffer
      - .offset:         16
        .size:           4
        .value_kind:     by_value
      - .address_space:  global
        .offset:         24
        .size:           8
        .value_kind:     global_buffer
      - .address_space:  global
        .offset:         32
        .size:           8
        .value_kind:     global_buffer
      - .address_space:  global
        .offset:         40
        .size:           8
        .value_kind:     global_buffer
      - .address_space:  global
        .offset:         48
        .size:           8
        .value_kind:     global_buffer
      - .offset:         56
        .size:           4
        .value_kind:     hidden_block_count_x
      - .offset:         60
        .size:           4
        .value_kind:     hidden_block_count_y
      - .offset:         64
        .size:           4
        .value_kind:     hidden_block_count_z
      - .offset:         68
        .size:           2
        .value_kind:     hidden_group_size_x
      - .offset:         70
        .size:           2
        .value_kind:     hidden_group_size_y
      - .offset:         72
        .size:           2
        .value_kind:     hidden_group_size_z
      - .offset:         74
        .size:           2
        .value_kind:     hidden_remainder_x
      - .offset:         76
        .size:           2
        .value_kind:     hidden_remainder_y
      - .offset:         78
        .size:           2
        .value_kind:     hidden_remainder_z
      - .offset:         96
        .size:           8
        .value_kind:     hidden_global_offset_x
      - .offset:         104
        .size:           8
        .value_kind:     hidden_global_offset_y
      - .offset:         112
        .size:           8
        .value_kind:     hidden_global_offset_z
      - .offset:         120
        .size:           2
        .value_kind:     hidden_grid_dims
      - .offset:         144
        .size:           8
        .value_kind:     hidden_multigrid_sync_arg
    .group_segment_fixed_size: 0
    .kernarg_segment_align: 8
    .kernarg_segment_size: 312
    .language:       OpenCL C
    .language_version:
      - 2
      - 0
    .max_flat_workgroup_size: 1024
    .name:           _Z11test_kernelPjS_jS_S_S_S_
    .private_segment_fixed_size: 0
    .sgpr_count:     40
    .sgpr_spill_count: 0
    .symbol:         _Z11test_kernelPjS_jS_S_S_S_.kd
    .uniform_work_group_size: 1
    .uses_dynamic_stack: false
    .vgpr_count:     12
    .vgpr_spill_count: 0
    .wavefront_size: 32
    .workgroup_processor_mode: 1
amdhsa.target:   amdgcn-amd-amdhsa--gfx1100
amdhsa.version:
  - 1
  - 2
...

	.end_amdgpu_metadata
